;; amdgpu-corpus repo=ROCm/rocFFT kind=compiled arch=gfx90a opt=O3
	.text
	.amdgcn_target "amdgcn-amd-amdhsa--gfx90a"
	.amdhsa_code_object_version 6
	.protected	bluestein_single_fwd_len546_dim1_dp_op_CI_CI ; -- Begin function bluestein_single_fwd_len546_dim1_dp_op_CI_CI
	.globl	bluestein_single_fwd_len546_dim1_dp_op_CI_CI
	.p2align	8
	.type	bluestein_single_fwd_len546_dim1_dp_op_CI_CI,@function
bluestein_single_fwd_len546_dim1_dp_op_CI_CI: ; @bluestein_single_fwd_len546_dim1_dp_op_CI_CI
; %bb.0:
	s_load_dwordx4 s[8:11], s[4:5], 0x28
	v_mul_u32_u24_e32 v1, 0x691, v0
	v_lshrrev_b32_e32 v4, 16, v1
	v_mad_u64_u32 v[2:3], s[0:1], s6, 3, v[4:5]
	v_mov_b32_e32 v3, 0
	s_waitcnt lgkmcnt(0)
	v_cmp_gt_u64_e32 vcc, s[8:9], v[2:3]
	s_and_saveexec_b64 s[0:1], vcc
	s_cbranch_execz .LBB0_23
; %bb.1:
	s_load_dwordx4 s[12:15], s[4:5], 0x18
	v_mul_lo_u16_e32 v1, 39, v4
	v_sub_u16_e32 v28, v0, v1
	v_mov_b32_e32 v3, s11
	v_accvgpr_write_b32 a62, v2
	s_waitcnt lgkmcnt(0)
	s_load_dwordx4 s[0:3], s[12:13], 0x0
	s_load_dwordx2 s[16:17], s[4:5], 0x0
	v_accvgpr_write_b32 a0, v28
	s_waitcnt lgkmcnt(0)
	v_mad_u64_u32 v[0:1], s[6:7], s2, v2, 0
	v_mov_b32_e32 v6, v1
	v_mad_u64_u32 v[4:5], s[6:7], s0, v28, 0
	v_mad_u64_u32 v[6:7], s[2:3], s3, v2, v[6:7]
	v_mov_b32_e32 v8, v5
	v_mov_b32_e32 v1, v6
	v_mad_u64_u32 v[6:7], s[2:3], s1, v28, v[8:9]
	v_lshlrev_b64 v[0:1], 4, v[0:1]
	v_mov_b32_e32 v5, v6
	v_add_co_u32_e32 v6, vcc, s10, v0
	v_addc_co_u32_e32 v3, vcc, v3, v1, vcc
	v_lshlrev_b64 v[0:1], 4, v[4:5]
	v_add_co_u32_e32 v0, vcc, v6, v0
	v_addc_co_u32_e32 v1, vcc, v3, v1, vcc
	v_lshlrev_b32_e32 v3, 4, v28
	s_mul_i32 s6, s1, 42
	s_mul_hi_u32 s7, s0, 42
	v_mov_b32_e32 v4, s17
	v_add_co_u32_e64 v252, s[2:3], s16, v3
	s_add_i32 s7, s7, s6
	s_mul_i32 s6, s0, 42
	v_addc_co_u32_e64 v253, vcc, 0, v4, s[2:3]
	s_lshl_b64 s[12:13], s[6:7], 4
	v_mov_b32_e32 v26, s13
	v_add_co_u32_e32 v4, vcc, s12, v0
	v_addc_co_u32_e32 v5, vcc, v1, v26, vcc
	global_load_dwordx4 v[56:59], v[0:1], off
	global_load_dwordx4 v[52:55], v[4:5], off
	global_load_dwordx4 v[112:115], v3, s[16:17]
	global_load_dwordx4 v[100:103], v3, s[16:17] offset:672
	v_add_co_u32_e32 v0, vcc, s12, v4
	v_addc_co_u32_e32 v1, vcc, v5, v26, vcc
	v_add_co_u32_e32 v4, vcc, s12, v0
	v_addc_co_u32_e32 v5, vcc, v1, v26, vcc
	global_load_dwordx4 v[64:67], v[0:1], off
	global_load_dwordx4 v[60:63], v[4:5], off
	global_load_dwordx4 v[104:107], v3, s[16:17] offset:1344
	global_load_dwordx4 v[96:99], v3, s[16:17] offset:2016
	v_add_co_u32_e32 v0, vcc, s12, v4
	v_addc_co_u32_e32 v1, vcc, v5, v26, vcc
	global_load_dwordx4 v[68:71], v[0:1], off
	v_add_co_u32_e32 v0, vcc, s12, v0
	v_addc_co_u32_e32 v1, vcc, v1, v26, vcc
	global_load_dwordx4 v[6:9], v[0:1], off
	global_load_dwordx4 v[108:111], v3, s[16:17] offset:2688
	global_load_dwordx4 v[42:45], v3, s[16:17] offset:3360
	v_add_co_u32_e32 v0, vcc, s12, v0
	v_addc_co_u32_e32 v1, vcc, v1, v26, vcc
	v_add_co_u32_e32 v4, vcc, s12, v0
	v_addc_co_u32_e32 v5, vcc, v1, v26, vcc
	s_movk_i32 s6, 0x1000
	global_load_dwordx4 v[10:13], v[0:1], off
	global_load_dwordx4 v[30:33], v3, s[16:17] offset:4032
	v_add_co_u32_e32 v0, vcc, s6, v252
	v_addc_co_u32_e32 v1, vcc, 0, v253, vcc
	global_load_dwordx4 v[14:17], v[4:5], off
	v_add_co_u32_e32 v4, vcc, s12, v4
	v_addc_co_u32_e32 v5, vcc, v5, v26, vcc
	global_load_dwordx4 v[18:21], v[4:5], off
	global_load_dwordx4 v[116:119], v[0:1], off offset:608
	global_load_dwordx4 v[38:41], v[0:1], off offset:1280
	v_add_co_u32_e32 v4, vcc, s12, v4
	v_addc_co_u32_e32 v5, vcc, v5, v26, vcc
	global_load_dwordx4 v[22:25], v[4:5], off
	global_load_dwordx4 v[88:91], v[0:1], off offset:1952
	v_add_co_u32_e32 v4, vcc, s12, v4
	v_addc_co_u32_e32 v5, vcc, v5, v26, vcc
	global_load_dwordx4 v[72:75], v[4:5], off
	;; [unrolled: 4-line block ×4, first 2 shown]
	global_load_dwordx4 v[92:95], v[0:1], off offset:3968
	s_load_dwordx2 s[6:7], s[4:5], 0x38
	s_load_dwordx4 s[8:11], s[14:15], 0x0
	s_mov_b32 s14, 0xaaaaaaab
	v_mul_hi_u32 v26, v2, s14
	v_lshrrev_b32_e32 v26, 1, v26
	v_lshl_add_u32 v26, v26, 1, v26
	v_sub_u32_e32 v26, v2, v26
	v_mul_u32_u24_e32 v26, 0x222, v26
	v_lshlrev_b32_e32 v254, 4, v26
	v_add_u32_e32 v3, v3, v254
	v_cmp_gt_u16_e32 vcc, 3, v28
	s_waitcnt vmcnt(23)
	v_mul_f64 v[84:85], v[58:59], v[114:115]
	v_mul_f64 v[26:27], v[56:57], v[114:115]
	v_fmac_f64_e32 v[84:85], v[56:57], v[112:113]
	v_fma_f64 v[86:87], v[58:59], v[112:113], -v[26:27]
	s_waitcnt vmcnt(22)
	v_mul_f64 v[56:57], v[54:55], v[102:103]
	v_mul_f64 v[26:27], v[52:53], v[102:103]
	v_fmac_f64_e32 v[56:57], v[52:53], v[100:101]
	v_fma_f64 v[58:59], v[54:55], v[100:101], -v[26:27]
	v_accvgpr_write_b32 a46, v112
	s_waitcnt vmcnt(19)
	v_mul_f64 v[52:53], v[66:67], v[106:107]
	v_mul_f64 v[26:27], v[64:65], v[106:107]
	v_fmac_f64_e32 v[52:53], v[64:65], v[104:105]
	v_fma_f64 v[54:55], v[66:67], v[104:105], -v[26:27]
	ds_write_b128 v3, v[52:55] offset:1344
	s_waitcnt vmcnt(18)
	v_mul_f64 v[52:53], v[62:63], v[98:99]
	v_mul_f64 v[26:27], v[60:61], v[98:99]
	v_fmac_f64_e32 v[52:53], v[60:61], v[96:97]
	v_fma_f64 v[54:55], v[62:63], v[96:97], -v[26:27]
	ds_write_b128 v3, v[52:55] offset:2016
	;; [unrolled: 6-line block ×3, first 2 shown]
	s_waitcnt vmcnt(14)
	v_mul_f64 v[52:53], v[8:9], v[44:45]
	v_fmac_f64_e32 v[52:53], v[6:7], v[42:43]
	v_mul_f64 v[6:7], v[6:7], v[44:45]
	v_fma_f64 v[54:55], v[8:9], v[42:43], -v[6:7]
	v_accvgpr_write_b32 a34, v100
	v_accvgpr_write_b32 a38, v104
	s_waitcnt vmcnt(12)
	v_mul_f64 v[6:7], v[12:13], v[32:33]
	v_mul_f64 v[8:9], v[10:11], v[32:33]
	v_fmac_f64_e32 v[6:7], v[10:11], v[30:31]
	v_fma_f64 v[8:9], v[12:13], v[30:31], -v[8:9]
	ds_write_b128 v3, v[6:9] offset:4032
	v_accvgpr_write_b32 a30, v96
	v_accvgpr_write_b32 a42, v108
	;; [unrolled: 1-line block ×4, first 2 shown]
	s_waitcnt vmcnt(9)
	v_mul_f64 v[6:7], v[16:17], v[118:119]
	v_mul_f64 v[8:9], v[14:15], v[118:119]
	v_fmac_f64_e32 v[6:7], v[14:15], v[116:117]
	v_fma_f64 v[8:9], v[16:17], v[116:117], -v[8:9]
	ds_write_b128 v3, v[6:9] offset:4704
	s_waitcnt vmcnt(8)
	v_mul_f64 v[6:7], v[20:21], v[40:41]
	v_mul_f64 v[8:9], v[18:19], v[40:41]
	v_fmac_f64_e32 v[6:7], v[18:19], v[38:39]
	v_fma_f64 v[8:9], v[20:21], v[38:39], -v[8:9]
	ds_write_b128 v3, v[6:9] offset:5376
	;; [unrolled: 6-line block ×4, first 2 shown]
	s_waitcnt vmcnt(2)
	v_mul_f64 v[6:7], v[78:79], v[48:49]
	v_mul_f64 v[8:9], v[76:77], v[48:49]
	v_fmac_f64_e32 v[6:7], v[76:77], v[46:47]
	v_fma_f64 v[8:9], v[78:79], v[46:47], -v[8:9]
	v_accvgpr_write_b32 a50, v116
	v_accvgpr_write_b32 a10, v38
	;; [unrolled: 1-line block ×5, first 2 shown]
	ds_write_b128 v3, v[6:9] offset:7392
	s_waitcnt vmcnt(0)
	v_mul_f64 v[6:7], v[82:83], v[94:95]
	v_mul_f64 v[8:9], v[80:81], v[94:95]
	v_accvgpr_write_b32 a26, v92
	v_accvgpr_write_b32 a47, v113
	;; [unrolled: 1-line block ×37, first 2 shown]
	v_fmac_f64_e32 v[6:7], v[80:81], v[92:93]
	v_accvgpr_write_b32 a27, v93
	v_accvgpr_write_b32 a28, v94
	;; [unrolled: 1-line block ×3, first 2 shown]
	v_fma_f64 v[8:9], v[82:83], v[92:93], -v[8:9]
	ds_write_b128 v3, v[84:87]
	ds_write_b128 v3, v[56:59] offset:672
	ds_write_b128 v3, v[52:55] offset:3360
	;; [unrolled: 1-line block ×3, first 2 shown]
	s_and_saveexec_b64 s[14:15], vcc
	s_cbranch_execz .LBB0_3
; %bb.2:
	v_mov_b32_e32 v6, 0xffffe2f0
	s_mulk_i32 s1, 0xe2f0
	v_mad_u64_u32 v[4:5], s[18:19], s0, v6, v[4:5]
	s_sub_i32 s0, s1, s0
	v_add_u32_e32 v5, s0, v5
	global_load_dwordx4 v[52:55], v[4:5], off
	v_mov_b32_e32 v30, s13
	v_add_co_u32_e64 v4, s[0:1], s12, v4
	v_addc_co_u32_e64 v5, s[0:1], v5, v30, s[0:1]
	global_load_dwordx4 v[56:59], v[4:5], off
	global_load_dwordx4 v[64:67], v[252:253], off offset:624
	global_load_dwordx4 v[60:63], v[252:253], off offset:1296
	v_add_co_u32_e64 v4, s[0:1], s12, v4
	v_addc_co_u32_e64 v5, s[0:1], v5, v30, s[0:1]
	global_load_dwordx4 v[68:71], v[4:5], off
	v_add_co_u32_e64 v4, s[0:1], s12, v4
	v_addc_co_u32_e64 v5, s[0:1], v5, v30, s[0:1]
	global_load_dwordx4 v[72:75], v[4:5], off
	global_load_dwordx4 v[80:83], v[252:253], off offset:1968
	global_load_dwordx4 v[76:79], v[252:253], off offset:2640
	v_add_co_u32_e64 v4, s[0:1], s12, v4
	v_addc_co_u32_e64 v5, s[0:1], v5, v30, s[0:1]
	v_add_co_u32_e64 v16, s[0:1], s12, v4
	v_addc_co_u32_e64 v17, s[0:1], v5, v30, s[0:1]
	;; [unrolled: 2-line block ×3, first 2 shown]
	v_add_co_u32_e64 v28, s[0:1], s12, v20
	global_load_dwordx4 v[84:87], v[4:5], off
	v_addc_co_u32_e64 v29, s[0:1], v21, v30, s[0:1]
	global_load_dwordx4 v[4:7], v[16:17], off
	global_load_dwordx4 v[8:11], v[252:253], off offset:3312
	global_load_dwordx4 v[12:15], v[252:253], off offset:3984
	s_waitcnt vmcnt(9)
	v_mul_f64 v[132:133], v[54:55], v[66:67]
	global_load_dwordx4 v[16:19], v[20:21], off
	s_nop 0
	global_load_dwordx4 v[20:23], v[28:29], off
	global_load_dwordx4 v[24:27], v[0:1], off offset:560
	global_load_dwordx4 v[88:91], v[0:1], off offset:1232
	v_add_co_u32_e64 v28, s[0:1], s12, v28
	v_addc_co_u32_e64 v29, s[0:1], v29, v30, s[0:1]
	global_load_dwordx4 v[92:95], v[28:29], off
	v_add_co_u32_e64 v28, s[0:1], s12, v28
	v_addc_co_u32_e64 v29, s[0:1], v29, v30, s[0:1]
	global_load_dwordx4 v[96:99], v[28:29], off
	global_load_dwordx4 v[100:103], v[0:1], off offset:1904
	global_load_dwordx4 v[104:107], v[0:1], off offset:2576
	v_add_co_u32_e64 v28, s[0:1], s12, v28
	v_addc_co_u32_e64 v29, s[0:1], v29, v30, s[0:1]
	global_load_dwordx4 v[108:111], v[28:29], off
	v_add_co_u32_e64 v28, s[0:1], s12, v28
	v_addc_co_u32_e64 v29, s[0:1], v29, v30, s[0:1]
	global_load_dwordx4 v[112:115], v[28:29], off
	global_load_dwordx4 v[116:119], v[0:1], off offset:3248
	global_load_dwordx4 v[120:123], v[0:1], off offset:3920
	v_add_co_u32_e64 v0, s[0:1], s12, v28
	v_addc_co_u32_e64 v1, s[0:1], v29, v30, s[0:1]
	s_movk_i32 s0, 0x2000
	global_load_dwordx4 v[124:127], v[0:1], off
	v_add_co_u32_e64 v0, s[0:1], s0, v252
	v_addc_co_u32_e64 v1, s[0:1], 0, v253, s[0:1]
	global_load_dwordx4 v[128:131], v[0:1], off offset:496
	v_mul_f64 v[0:1], v[52:53], v[66:67]
	v_fmac_f64_e32 v[132:133], v[52:53], v[64:65]
	v_fma_f64 v[134:135], v[54:55], v[64:65], -v[0:1]
	s_waitcnt vmcnt(22)
	v_mul_f64 v[52:53], v[58:59], v[62:63]
	v_mul_f64 v[0:1], v[56:57], v[62:63]
	v_fmac_f64_e32 v[52:53], v[56:57], v[60:61]
	v_fma_f64 v[54:55], v[58:59], v[60:61], -v[0:1]
	ds_write_b128 v3, v[52:55] offset:1296
	s_waitcnt vmcnt(19)
	v_mul_f64 v[52:53], v[70:71], v[82:83]
	v_mul_f64 v[0:1], v[68:69], v[82:83]
	v_fmac_f64_e32 v[52:53], v[68:69], v[80:81]
	v_fma_f64 v[54:55], v[70:71], v[80:81], -v[0:1]
	ds_write_b128 v3, v[52:55] offset:1968
	;; [unrolled: 6-line block ×3, first 2 shown]
	s_waitcnt vmcnt(15)
	v_mul_f64 v[52:53], v[86:87], v[10:11]
	v_mul_f64 v[0:1], v[84:85], v[10:11]
	v_fmac_f64_e32 v[52:53], v[84:85], v[8:9]
	v_fma_f64 v[54:55], v[86:87], v[8:9], -v[0:1]
	s_waitcnt vmcnt(14)
	v_mul_f64 v[8:9], v[6:7], v[14:15]
	v_mul_f64 v[0:1], v[4:5], v[14:15]
	v_fmac_f64_e32 v[8:9], v[4:5], v[12:13]
	v_fma_f64 v[10:11], v[6:7], v[12:13], -v[0:1]
	ds_write_b128 v3, v[132:135] offset:624
	ds_write_b128 v3, v[52:55] offset:3312
	;; [unrolled: 1-line block ×3, first 2 shown]
	s_waitcnt vmcnt(11)
	v_mul_f64 v[4:5], v[18:19], v[26:27]
	v_mul_f64 v[0:1], v[16:17], v[26:27]
	v_fmac_f64_e32 v[4:5], v[16:17], v[24:25]
	v_fma_f64 v[6:7], v[18:19], v[24:25], -v[0:1]
	ds_write_b128 v3, v[4:7] offset:4656
	s_waitcnt vmcnt(10)
	v_mul_f64 v[4:5], v[22:23], v[90:91]
	v_mul_f64 v[0:1], v[20:21], v[90:91]
	v_fmac_f64_e32 v[4:5], v[20:21], v[88:89]
	v_fma_f64 v[6:7], v[22:23], v[88:89], -v[0:1]
	ds_write_b128 v3, v[4:7] offset:5328
	;; [unrolled: 6-line block ×7, first 2 shown]
.LBB0_3:
	s_or_b64 exec, exec, s[14:15]
	s_waitcnt lgkmcnt(0)
	s_barrier
	ds_read_b128 v[144:147], v3
	ds_read_b128 v[152:155], v3 offset:672
	ds_read_b128 v[140:143], v3 offset:1344
	;; [unrolled: 1-line block ×12, first 2 shown]
                                        ; implicit-def: $vgpr84_vgpr85
                                        ; implicit-def: $vgpr104_vgpr105
                                        ; implicit-def: $vgpr88_vgpr89
                                        ; implicit-def: $vgpr72_vgpr73
                                        ; implicit-def: $vgpr68_vgpr69
                                        ; implicit-def: $vgpr60_vgpr61
                                        ; implicit-def: $vgpr52_vgpr53
                                        ; implicit-def: $vgpr56_vgpr57
                                        ; implicit-def: $vgpr64_vgpr65
                                        ; implicit-def: $vgpr76_vgpr77
                                        ; implicit-def: $vgpr100_vgpr101
                                        ; implicit-def: $vgpr108_vgpr109
                                        ; implicit-def: $vgpr112_vgpr113
	s_and_saveexec_b64 s[0:1], vcc
	s_cbranch_execz .LBB0_5
; %bb.4:
	ds_read_b128 v[84:87], v3 offset:624
	ds_read_b128 v[104:107], v3 offset:1296
	;; [unrolled: 1-line block ×13, first 2 shown]
.LBB0_5:
	s_or_b64 exec, exec, s[0:1]
	s_waitcnt lgkmcnt(11)
	v_add_f64 v[4:5], v[144:145], v[152:153]
	s_waitcnt lgkmcnt(10)
	v_add_f64 v[4:5], v[4:5], v[140:141]
	v_add_f64 v[6:7], v[146:147], v[154:155]
	s_waitcnt lgkmcnt(9)
	v_add_f64 v[4:5], v[4:5], v[132:133]
	;; [unrolled: 3-line block ×8, first 2 shown]
	v_accvgpr_read_b32 v204, a0
	v_add_f64 v[6:7], v[6:7], v[122:123]
	s_waitcnt lgkmcnt(2)
	v_add_f64 v[4:5], v[4:5], v[136:137]
	s_mov_b32 s44, 0x4267c47c
	s_mov_b32 s26, 0x42a4c3d2
	;; [unrolled: 1-line block ×6, first 2 shown]
	v_add_co_u32_e64 v0, s[0:1], 39, v204
	v_add_f64 v[6:7], v[6:7], v[130:131]
	s_waitcnt lgkmcnt(1)
	v_add_f64 v[4:5], v[4:5], v[148:149]
	s_waitcnt lgkmcnt(0)
	v_add_f64 v[10:11], v[154:155], -v[158:159]
	s_mov_b32 s45, 0xbfddbe06
	s_mov_b32 s27, 0xbfea55e2
	;; [unrolled: 1-line block ×7, first 2 shown]
	v_add_f64 v[6:7], v[6:7], v[138:139]
	v_add_f64 v[80:81], v[4:5], v[156:157]
	;; [unrolled: 1-line block ×3, first 2 shown]
	v_mul_f64 v[12:13], v[10:11], s[44:45]
	s_mov_b32 s14, 0xe00740e9
	v_mul_f64 v[20:21], v[10:11], s[26:27]
	s_mov_b32 s12, 0x1ea71119
	;; [unrolled: 2-line block ×6, first 2 shown]
	v_add_f64 v[6:7], v[6:7], v[150:151]
	v_add_f64 v[8:9], v[152:153], -v[156:157]
	s_mov_b32 s15, 0x3fec55a7
	s_mov_b32 s13, 0x3fe22d96
	;; [unrolled: 1-line block ×5, first 2 shown]
	v_fma_f64 v[152:153], v[4:5], s[30:31], -v[10:11]
	v_fmac_f64_e32 v[10:11], s[30:31], v[4:5]
	v_add_f64 v[82:83], v[6:7], v[158:159]
	v_add_f64 v[6:7], v[154:155], v[158:159]
	v_fma_f64 v[14:15], v[4:5], s[14:15], -v[12:13]
	v_mul_f64 v[16:17], v[8:9], s[44:45]
	v_fmac_f64_e32 v[12:13], s[14:15], v[4:5]
	v_fma_f64 v[22:23], v[4:5], s[12:13], -v[20:21]
	v_mul_f64 v[24:25], v[8:9], s[26:27]
	v_fmac_f64_e32 v[20:21], s[12:13], v[4:5]
	;; [unrolled: 3-line block ×5, first 2 shown]
	v_mul_f64 v[8:9], v[8:9], s[28:29]
	v_add_f64 v[4:5], v[144:145], v[10:11]
	v_add_f64 v[10:11], v[142:143], v[150:151]
	v_add_f64 v[142:143], v[142:143], -v[150:151]
	v_add_f64 v[14:15], v[144:145], v[14:15]
	v_fma_f64 v[18:19], s[14:15], v[6:7], v[16:17]
	v_add_f64 v[12:13], v[144:145], v[12:13]
	v_fma_f64 v[16:17], v[6:7], s[14:15], -v[16:17]
	v_add_f64 v[22:23], v[144:145], v[22:23]
	v_fma_f64 v[26:27], s[12:13], v[6:7], v[24:25]
	v_add_f64 v[20:21], v[144:145], v[20:21]
	v_fma_f64 v[24:25], v[6:7], s[12:13], -v[24:25]
	v_add_f64 v[30:31], v[144:145], v[30:31]
	v_fma_f64 v[34:35], s[0:1], v[6:7], v[32:33]
	v_add_f64 v[28:29], v[144:145], v[28:29]
	v_fma_f64 v[32:33], v[6:7], s[0:1], -v[32:33]
	v_add_f64 v[38:39], v[144:145], v[38:39]
	v_fma_f64 v[42:43], s[20:21], v[6:7], v[40:41]
	v_add_f64 v[36:37], v[144:145], v[36:37]
	v_fma_f64 v[40:41], v[6:7], s[20:21], -v[40:41]
	v_add_f64 v[46:47], v[144:145], v[46:47]
	v_fma_f64 v[50:51], s[24:25], v[6:7], v[48:49]
	v_add_f64 v[44:45], v[144:145], v[44:45]
	v_fma_f64 v[48:49], v[6:7], s[24:25], -v[48:49]
	v_add_f64 v[152:153], v[144:145], v[152:153]
	v_fma_f64 v[154:155], s[30:31], v[6:7], v[8:9]
	v_fma_f64 v[6:7], v[6:7], s[30:31], -v[8:9]
	v_add_f64 v[8:9], v[140:141], v[148:149]
	v_mul_f64 v[144:145], v[142:143], s[26:27]
	v_add_f64 v[18:19], v[146:147], v[18:19]
	v_add_f64 v[16:17], v[146:147], v[16:17]
	;; [unrolled: 1-line block ×12, first 2 shown]
	v_add_f64 v[140:141], v[140:141], -v[148:149]
	v_fma_f64 v[146:147], v[8:9], s[12:13], -v[144:145]
	v_add_f64 v[14:15], v[146:147], v[14:15]
	v_mul_f64 v[146:147], v[140:141], s[26:27]
	v_fmac_f64_e32 v[144:145], s[12:13], v[8:9]
	v_add_f64 v[12:13], v[144:145], v[12:13]
	v_fma_f64 v[144:145], v[10:11], s[12:13], -v[146:147]
	v_add_f64 v[16:17], v[144:145], v[16:17]
	v_mul_f64 v[144:145], v[142:143], s[18:19]
	v_fma_f64 v[148:149], s[12:13], v[10:11], v[146:147]
	v_fma_f64 v[146:147], v[8:9], s[20:21], -v[144:145]
	v_add_f64 v[22:23], v[146:147], v[22:23]
	v_mul_f64 v[146:147], v[140:141], s[18:19]
	v_fmac_f64_e32 v[144:145], s[20:21], v[8:9]
	v_add_f64 v[20:21], v[144:145], v[20:21]
	v_fma_f64 v[144:145], v[10:11], s[20:21], -v[146:147]
	v_add_f64 v[24:25], v[144:145], v[24:25]
	v_mul_f64 v[144:145], v[142:143], s[28:29]
	v_add_f64 v[18:19], v[148:149], v[18:19]
	v_fma_f64 v[148:149], s[20:21], v[10:11], v[146:147]
	v_fma_f64 v[146:147], v[8:9], s[30:31], -v[144:145]
	v_add_f64 v[30:31], v[146:147], v[30:31]
	v_mul_f64 v[146:147], v[140:141], s[28:29]
	v_fmac_f64_e32 v[144:145], s[30:31], v[8:9]
	v_add_f64 v[28:29], v[144:145], v[28:29]
	v_fma_f64 v[144:145], v[10:11], s[30:31], -v[146:147]
	s_mov_b32 s41, 0x3fe5384d
	s_mov_b32 s40, s22
	v_add_f64 v[32:33], v[144:145], v[32:33]
	v_mul_f64 v[144:145], v[142:143], s[40:41]
	v_add_f64 v[26:27], v[148:149], v[26:27]
	v_fma_f64 v[148:149], s[30:31], v[10:11], v[146:147]
	v_fma_f64 v[146:147], v[8:9], s[24:25], -v[144:145]
	v_add_f64 v[38:39], v[146:147], v[38:39]
	v_mul_f64 v[146:147], v[140:141], s[40:41]
	v_fmac_f64_e32 v[144:145], s[24:25], v[8:9]
	v_add_f64 v[36:37], v[144:145], v[36:37]
	v_fma_f64 v[144:145], v[10:11], s[24:25], -v[146:147]
	s_mov_b32 s35, 0x3fefc445
	s_mov_b32 s34, s36
	v_add_f64 v[40:41], v[144:145], v[40:41]
	v_mul_f64 v[144:145], v[142:143], s[34:35]
	v_add_f64 v[34:35], v[148:149], v[34:35]
	v_fma_f64 v[148:149], s[24:25], v[10:11], v[146:147]
	v_fma_f64 v[146:147], v[8:9], s[0:1], -v[144:145]
	v_add_f64 v[46:47], v[146:147], v[46:47]
	v_mul_f64 v[146:147], v[140:141], s[34:35]
	v_fmac_f64_e32 v[144:145], s[0:1], v[8:9]
	s_mov_b32 s39, 0x3fddbe06
	s_mov_b32 s38, s44
	v_add_f64 v[44:45], v[144:145], v[44:45]
	v_fma_f64 v[144:145], v[10:11], s[0:1], -v[146:147]
	v_mul_f64 v[142:143], v[142:143], s[38:39]
	v_mul_f64 v[140:141], v[140:141], s[38:39]
	v_add_f64 v[42:43], v[148:149], v[42:43]
	v_fma_f64 v[148:149], s[0:1], v[10:11], v[146:147]
	v_add_f64 v[48:49], v[144:145], v[48:49]
	v_fma_f64 v[144:145], v[8:9], s[14:15], -v[142:143]
	v_fma_f64 v[146:147], s[14:15], v[10:11], v[140:141]
	v_fmac_f64_e32 v[142:143], s[14:15], v[8:9]
	v_fma_f64 v[8:9], v[10:11], s[14:15], -v[140:141]
	v_add_f64 v[10:11], v[134:135], v[138:139]
	v_add_f64 v[134:135], v[134:135], -v[138:139]
	v_add_f64 v[6:7], v[8:9], v[6:7]
	v_add_f64 v[8:9], v[132:133], v[136:137]
	v_add_f64 v[132:133], v[132:133], -v[136:137]
	v_mul_f64 v[136:137], v[134:135], s[36:37]
	v_fma_f64 v[138:139], v[8:9], s[0:1], -v[136:137]
	v_add_f64 v[14:15], v[138:139], v[14:15]
	v_mul_f64 v[138:139], v[132:133], s[36:37]
	v_fmac_f64_e32 v[136:137], s[0:1], v[8:9]
	v_add_f64 v[12:13], v[136:137], v[12:13]
	v_fma_f64 v[136:137], v[10:11], s[0:1], -v[138:139]
	v_add_f64 v[16:17], v[136:137], v[16:17]
	v_mul_f64 v[136:137], v[134:135], s[28:29]
	v_fma_f64 v[140:141], s[0:1], v[10:11], v[138:139]
	v_fma_f64 v[138:139], v[8:9], s[30:31], -v[136:137]
	v_add_f64 v[22:23], v[138:139], v[22:23]
	v_mul_f64 v[138:139], v[132:133], s[28:29]
	v_fmac_f64_e32 v[136:137], s[30:31], v[8:9]
	v_add_f64 v[20:21], v[136:137], v[20:21]
	v_fma_f64 v[136:137], v[10:11], s[30:31], -v[138:139]
	s_mov_b32 s49, 0x3fedeba7
	s_mov_b32 s48, s18
	v_add_f64 v[24:25], v[136:137], v[24:25]
	v_mul_f64 v[136:137], v[134:135], s[48:49]
	v_add_f64 v[18:19], v[140:141], v[18:19]
	v_fma_f64 v[140:141], s[30:31], v[10:11], v[138:139]
	v_fma_f64 v[138:139], v[8:9], s[20:21], -v[136:137]
	v_add_f64 v[30:31], v[138:139], v[30:31]
	v_mul_f64 v[138:139], v[132:133], s[48:49]
	v_fmac_f64_e32 v[136:137], s[20:21], v[8:9]
	v_add_f64 v[28:29], v[136:137], v[28:29]
	v_fma_f64 v[136:137], v[10:11], s[20:21], -v[138:139]
	v_add_f64 v[32:33], v[136:137], v[32:33]
	v_mul_f64 v[136:137], v[134:135], s[38:39]
	v_add_f64 v[26:27], v[140:141], v[26:27]
	v_fma_f64 v[140:141], s[20:21], v[10:11], v[138:139]
	v_fma_f64 v[138:139], v[8:9], s[14:15], -v[136:137]
	v_add_f64 v[38:39], v[138:139], v[38:39]
	v_mul_f64 v[138:139], v[132:133], s[38:39]
	v_fmac_f64_e32 v[136:137], s[14:15], v[8:9]
	v_add_f64 v[36:37], v[136:137], v[36:37]
	v_fma_f64 v[136:137], v[10:11], s[14:15], -v[138:139]
	;; [unrolled: 10-line block ×3, first 2 shown]
	v_mul_f64 v[134:135], v[134:135], s[22:23]
	v_mul_f64 v[132:133], v[132:133], s[22:23]
	v_add_f64 v[42:43], v[140:141], v[42:43]
	v_fma_f64 v[140:141], s[12:13], v[10:11], v[138:139]
	v_add_f64 v[48:49], v[136:137], v[48:49]
	v_fma_f64 v[136:137], v[8:9], s[24:25], -v[134:135]
	v_fma_f64 v[138:139], s[24:25], v[10:11], v[132:133]
	v_fmac_f64_e32 v[134:135], s[24:25], v[8:9]
	v_fma_f64 v[8:9], v[10:11], s[24:25], -v[132:133]
	v_add_f64 v[10:11], v[126:127], v[130:131]
	v_add_f64 v[126:127], v[126:127], -v[130:131]
	v_add_f64 v[6:7], v[8:9], v[6:7]
	v_add_f64 v[8:9], v[124:125], v[128:129]
	v_add_f64 v[124:125], v[124:125], -v[128:129]
	v_mul_f64 v[128:129], v[126:127], s[18:19]
	v_fma_f64 v[130:131], v[8:9], s[20:21], -v[128:129]
	v_add_f64 v[14:15], v[130:131], v[14:15]
	v_mul_f64 v[130:131], v[124:125], s[18:19]
	v_fmac_f64_e32 v[128:129], s[20:21], v[8:9]
	v_add_f64 v[12:13], v[128:129], v[12:13]
	v_fma_f64 v[128:129], v[10:11], s[20:21], -v[130:131]
	v_add_f64 v[16:17], v[128:129], v[16:17]
	v_mul_f64 v[128:129], v[126:127], s[40:41]
	v_fma_f64 v[132:133], s[20:21], v[10:11], v[130:131]
	v_fma_f64 v[130:131], v[8:9], s[24:25], -v[128:129]
	v_add_f64 v[22:23], v[130:131], v[22:23]
	v_mul_f64 v[130:131], v[124:125], s[40:41]
	v_fmac_f64_e32 v[128:129], s[24:25], v[8:9]
	v_add_f64 v[20:21], v[128:129], v[20:21]
	v_fma_f64 v[128:129], v[10:11], s[24:25], -v[130:131]
	v_add_f64 v[24:25], v[128:129], v[24:25]
	v_mul_f64 v[128:129], v[126:127], s[38:39]
	v_add_f64 v[18:19], v[132:133], v[18:19]
	v_fma_f64 v[132:133], s[24:25], v[10:11], v[130:131]
	v_fma_f64 v[130:131], v[8:9], s[14:15], -v[128:129]
	v_add_f64 v[30:31], v[130:131], v[30:31]
	v_mul_f64 v[130:131], v[124:125], s[38:39]
	v_fmac_f64_e32 v[128:129], s[14:15], v[8:9]
	v_add_f64 v[28:29], v[128:129], v[28:29]
	v_fma_f64 v[128:129], v[10:11], s[14:15], -v[130:131]
	v_add_f64 v[32:33], v[128:129], v[32:33]
	v_mul_f64 v[128:129], v[126:127], s[36:37]
	v_add_f64 v[26:27], v[132:133], v[26:27]
	v_fma_f64 v[132:133], s[14:15], v[10:11], v[130:131]
	v_fma_f64 v[130:131], v[8:9], s[0:1], -v[128:129]
	v_add_f64 v[38:39], v[130:131], v[38:39]
	v_mul_f64 v[130:131], v[124:125], s[36:37]
	v_fmac_f64_e32 v[128:129], s[0:1], v[8:9]
	v_add_f64 v[36:37], v[128:129], v[36:37]
	v_fma_f64 v[128:129], v[10:11], s[0:1], -v[130:131]
	s_mov_b32 s47, 0x3fcea1e5
	s_mov_b32 s46, s28
	v_add_f64 v[40:41], v[128:129], v[40:41]
	v_mul_f64 v[128:129], v[126:127], s[46:47]
	v_add_f64 v[34:35], v[132:133], v[34:35]
	v_fma_f64 v[132:133], s[0:1], v[10:11], v[130:131]
	v_fma_f64 v[130:131], v[8:9], s[30:31], -v[128:129]
	v_add_f64 v[46:47], v[130:131], v[46:47]
	v_mul_f64 v[130:131], v[124:125], s[46:47]
	v_fmac_f64_e32 v[128:129], s[30:31], v[8:9]
	s_mov_b32 s43, 0x3fea55e2
	s_mov_b32 s42, s26
	v_add_f64 v[44:45], v[128:129], v[44:45]
	v_fma_f64 v[128:129], v[10:11], s[30:31], -v[130:131]
	v_mul_f64 v[126:127], v[126:127], s[42:43]
	v_mul_f64 v[124:125], v[124:125], s[42:43]
	v_add_f64 v[42:43], v[132:133], v[42:43]
	v_fma_f64 v[132:133], s[30:31], v[10:11], v[130:131]
	v_add_f64 v[48:49], v[128:129], v[48:49]
	v_fma_f64 v[128:129], v[8:9], s[12:13], -v[126:127]
	v_fma_f64 v[130:131], s[12:13], v[10:11], v[124:125]
	v_fmac_f64_e32 v[126:127], s[12:13], v[8:9]
	v_fma_f64 v[8:9], v[10:11], s[12:13], -v[124:125]
	v_add_f64 v[10:11], v[118:119], v[122:123]
	v_add_f64 v[118:119], v[118:119], -v[122:123]
	v_add_f64 v[6:7], v[8:9], v[6:7]
	v_add_f64 v[8:9], v[116:117], v[120:121]
	v_add_f64 v[116:117], v[116:117], -v[120:121]
	v_mul_f64 v[120:121], v[118:119], s[22:23]
	v_fma_f64 v[122:123], v[8:9], s[24:25], -v[120:121]
	v_add_f64 v[14:15], v[122:123], v[14:15]
	v_mul_f64 v[122:123], v[116:117], s[22:23]
	v_fmac_f64_e32 v[120:121], s[24:25], v[8:9]
	v_add_f64 v[12:13], v[120:121], v[12:13]
	v_fma_f64 v[120:121], v[10:11], s[24:25], -v[122:123]
	v_add_f64 v[16:17], v[120:121], v[16:17]
	v_mul_f64 v[120:121], v[118:119], s[34:35]
	v_fma_f64 v[124:125], s[24:25], v[10:11], v[122:123]
	v_fma_f64 v[122:123], v[8:9], s[0:1], -v[120:121]
	v_add_f64 v[22:23], v[122:123], v[22:23]
	v_mul_f64 v[122:123], v[116:117], s[34:35]
	v_fmac_f64_e32 v[120:121], s[0:1], v[8:9]
	v_add_f64 v[20:21], v[120:121], v[20:21]
	v_fma_f64 v[120:121], v[10:11], s[0:1], -v[122:123]
	v_add_f64 v[24:25], v[120:121], v[24:25]
	v_mul_f64 v[120:121], v[118:119], s[26:27]
	v_add_f64 v[18:19], v[124:125], v[18:19]
	v_fma_f64 v[124:125], s[0:1], v[10:11], v[122:123]
	v_fma_f64 v[122:123], v[8:9], s[12:13], -v[120:121]
	v_add_f64 v[30:31], v[122:123], v[30:31]
	v_mul_f64 v[122:123], v[116:117], s[26:27]
	v_fmac_f64_e32 v[120:121], s[12:13], v[8:9]
	v_add_f64 v[28:29], v[120:121], v[28:29]
	v_fma_f64 v[120:121], v[10:11], s[12:13], -v[122:123]
	v_add_f64 v[32:33], v[120:121], v[32:33]
	v_mul_f64 v[120:121], v[118:119], s[46:47]
	v_add_f64 v[26:27], v[124:125], v[26:27]
	;; [unrolled: 10-line block ×3, first 2 shown]
	v_fma_f64 v[124:125], s[30:31], v[10:11], v[122:123]
	v_fma_f64 v[122:123], v[8:9], s[14:15], -v[120:121]
	v_add_f64 v[46:47], v[122:123], v[46:47]
	v_mul_f64 v[122:123], v[116:117], s[38:39]
	v_fmac_f64_e32 v[120:121], s[14:15], v[8:9]
	v_add_f64 v[44:45], v[120:121], v[44:45]
	v_fma_f64 v[120:121], v[10:11], s[14:15], -v[122:123]
	v_mul_f64 v[118:119], v[118:119], s[18:19]
	v_mul_f64 v[116:117], v[116:117], s[18:19]
	v_add_f64 v[42:43], v[124:125], v[42:43]
	v_fma_f64 v[124:125], s[14:15], v[10:11], v[122:123]
	v_add_f64 v[48:49], v[120:121], v[48:49]
	v_fma_f64 v[120:121], v[8:9], s[20:21], -v[118:119]
	v_fma_f64 v[122:123], s[20:21], v[10:11], v[116:117]
	v_fmac_f64_e32 v[118:119], s[20:21], v[8:9]
	v_fma_f64 v[8:9], v[10:11], s[20:21], -v[116:117]
	v_add_f64 v[10:11], v[94:95], v[98:99]
	v_add_f64 v[98:99], v[94:95], -v[98:99]
	v_add_f64 v[6:7], v[8:9], v[6:7]
	v_add_f64 v[8:9], v[92:93], v[96:97]
	v_add_f64 v[96:97], v[92:93], -v[96:97]
	v_mul_f64 v[92:93], v[98:99], s[28:29]
	v_fma_f64 v[94:95], v[8:9], s[30:31], -v[92:93]
	v_add_f64 v[144:145], v[144:145], v[152:153]
	v_add_f64 v[152:153], v[94:95], v[14:15]
	v_mul_f64 v[14:15], v[96:97], s[28:29]
	v_fmac_f64_e32 v[92:93], s[30:31], v[8:9]
	v_fma_f64 v[94:95], s[30:31], v[10:11], v[14:15]
	v_add_f64 v[92:93], v[92:93], v[12:13]
	v_fma_f64 v[12:13], v[10:11], s[30:31], -v[14:15]
	v_add_f64 v[146:147], v[146:147], v[154:155]
	v_add_f64 v[154:155], v[94:95], v[18:19]
	v_add_f64 v[94:95], v[12:13], v[16:17]
	v_mul_f64 v[12:13], v[98:99], s[38:39]
	v_fma_f64 v[14:15], v[8:9], s[14:15], -v[12:13]
	v_add_f64 v[50:51], v[148:149], v[50:51]
	v_add_f64 v[172:173], v[14:15], v[22:23]
	v_mul_f64 v[14:15], v[96:97], s[38:39]
	v_fmac_f64_e32 v[12:13], s[14:15], v[8:9]
	v_add_f64 v[50:51], v[140:141], v[50:51]
	v_add_f64 v[140:141], v[12:13], v[20:21]
	v_fma_f64 v[12:13], v[10:11], s[14:15], -v[14:15]
	v_add_f64 v[4:5], v[142:143], v[4:5]
	v_add_f64 v[142:143], v[12:13], v[24:25]
	v_mul_f64 v[12:13], v[98:99], s[22:23]
	v_fma_f64 v[16:17], s[14:15], v[10:11], v[14:15]
	v_fma_f64 v[14:15], v[8:9], s[24:25], -v[12:13]
	v_add_f64 v[180:181], v[14:15], v[30:31]
	v_mul_f64 v[14:15], v[96:97], s[22:23]
	v_fmac_f64_e32 v[12:13], s[24:25], v[8:9]
	v_add_f64 v[164:165], v[12:13], v[28:29]
	v_fma_f64 v[12:13], v[10:11], s[24:25], -v[14:15]
	v_add_f64 v[166:167], v[12:13], v[32:33]
	v_mul_f64 v[12:13], v[98:99], s[42:43]
	v_add_f64 v[174:175], v[16:17], v[26:27]
	v_fma_f64 v[16:17], s[24:25], v[10:11], v[14:15]
	v_fma_f64 v[14:15], v[8:9], s[12:13], -v[12:13]
	v_add_f64 v[184:185], v[14:15], v[38:39]
	v_mul_f64 v[14:15], v[96:97], s[42:43]
	v_fmac_f64_e32 v[12:13], s[12:13], v[8:9]
	v_add_f64 v[176:177], v[12:13], v[36:37]
	v_fma_f64 v[12:13], v[10:11], s[12:13], -v[14:15]
	v_add_f64 v[178:179], v[12:13], v[40:41]
	v_mul_f64 v[12:13], v[98:99], s[18:19]
	v_add_f64 v[182:183], v[16:17], v[34:35]
	v_fma_f64 v[16:17], s[12:13], v[10:11], v[14:15]
	v_fma_f64 v[14:15], v[8:9], s[20:21], -v[12:13]
	v_add_f64 v[192:193], v[14:15], v[46:47]
	v_mul_f64 v[14:15], v[96:97], s[18:19]
	v_fmac_f64_e32 v[12:13], s[20:21], v[8:9]
	v_add_f64 v[136:137], v[136:137], v[144:145]
	v_add_f64 v[188:189], v[12:13], v[44:45]
	v_fma_f64 v[12:13], v[10:11], s[20:21], -v[14:15]
	v_add_f64 v[4:5], v[134:135], v[4:5]
	v_add_f64 v[128:129], v[128:129], v[136:137]
	;; [unrolled: 1-line block ×3, first 2 shown]
	v_mul_f64 v[12:13], v[98:99], s[34:35]
	v_add_f64 v[4:5], v[126:127], v[4:5]
	v_add_f64 v[120:121], v[120:121], v[128:129]
	;; [unrolled: 1-line block ×3, first 2 shown]
	v_fma_f64 v[16:17], s[20:21], v[10:11], v[14:15]
	v_fma_f64 v[14:15], v[8:9], s[0:1], -v[12:13]
	v_add_f64 v[4:5], v[118:119], v[4:5]
	v_add_f64 v[196:197], v[14:15], v[120:121]
	v_mul_f64 v[14:15], v[96:97], s[34:35]
	v_fmac_f64_e32 v[12:13], s[0:1], v[8:9]
	v_add_f64 v[200:201], v[12:13], v[4:5]
	v_fma_f64 v[4:5], v[10:11], s[0:1], -v[14:15]
	v_add_f64 v[202:203], v[4:5], v[6:7]
	v_add_f64 v[6:7], v[86:87], v[106:107]
	;; [unrolled: 1-line block ×26, first 2 shown]
	v_fma_f64 v[16:17], s[0:1], v[10:11], v[14:15]
	v_add_f64 v[4:5], v[4:5], v[100:101]
	v_add_f64 v[6:7], v[6:7], v[110:111]
	v_add_f64 v[8:9], v[104:105], -v[112:113]
	v_add_f64 v[198:199], v[16:17], v[122:123]
	v_add_f64 v[4:5], v[4:5], v[108:109]
	;; [unrolled: 1-line block ×4, first 2 shown]
	v_add_f64 v[10:11], v[106:107], -v[114:115]
	v_mul_f64 v[16:17], v[8:9], s[44:45]
	v_mul_f64 v[24:25], v[8:9], s[26:27]
	;; [unrolled: 1-line block ×6, first 2 shown]
	v_add_f64 v[96:97], v[4:5], v[112:113]
	v_add_f64 v[4:5], v[104:105], v[112:113]
	v_mul_f64 v[12:13], v[10:11], s[44:45]
	v_fma_f64 v[18:19], s[14:15], v[6:7], v[16:17]
	v_fma_f64 v[16:17], v[6:7], s[14:15], -v[16:17]
	v_mul_f64 v[20:21], v[10:11], s[26:27]
	v_fma_f64 v[26:27], s[12:13], v[6:7], v[24:25]
	v_fma_f64 v[24:25], v[6:7], s[12:13], -v[24:25]
	;; [unrolled: 3-line block ×6, first 2 shown]
	v_fma_f64 v[14:15], v[4:5], s[14:15], -v[12:13]
	v_add_f64 v[18:19], v[86:87], v[18:19]
	v_fmac_f64_e32 v[12:13], s[14:15], v[4:5]
	v_add_f64 v[16:17], v[86:87], v[16:17]
	v_fma_f64 v[22:23], v[4:5], s[12:13], -v[20:21]
	v_add_f64 v[26:27], v[86:87], v[26:27]
	v_fmac_f64_e32 v[20:21], s[12:13], v[4:5]
	v_add_f64 v[24:25], v[86:87], v[24:25]
	;; [unrolled: 4-line block ×6, first 2 shown]
	v_add_f64 v[86:87], v[90:91], -v[110:111]
	v_add_f64 v[14:15], v[84:85], v[14:15]
	v_add_f64 v[12:13], v[84:85], v[12:13]
	;; [unrolled: 1-line block ×13, first 2 shown]
	v_add_f64 v[84:85], v[88:89], -v[108:109]
	v_mul_f64 v[88:89], v[86:87], s[26:27]
	v_add_f64 v[10:11], v[90:91], v[110:111]
	v_fma_f64 v[90:91], v[8:9], s[12:13], -v[88:89]
	v_add_f64 v[14:15], v[90:91], v[14:15]
	v_mul_f64 v[90:91], v[84:85], s[26:27]
	v_fmac_f64_e32 v[88:89], s[12:13], v[8:9]
	v_add_f64 v[12:13], v[88:89], v[12:13]
	v_fma_f64 v[88:89], v[10:11], s[12:13], -v[90:91]
	v_add_f64 v[16:17], v[88:89], v[16:17]
	v_mul_f64 v[88:89], v[86:87], s[18:19]
	v_fma_f64 v[108:109], s[12:13], v[10:11], v[90:91]
	v_fma_f64 v[90:91], v[8:9], s[20:21], -v[88:89]
	v_add_f64 v[22:23], v[90:91], v[22:23]
	v_mul_f64 v[90:91], v[84:85], s[18:19]
	v_fmac_f64_e32 v[88:89], s[20:21], v[8:9]
	v_add_f64 v[20:21], v[88:89], v[20:21]
	v_fma_f64 v[88:89], v[10:11], s[20:21], -v[90:91]
	v_add_f64 v[24:25], v[88:89], v[24:25]
	v_mul_f64 v[88:89], v[86:87], s[28:29]
	v_add_f64 v[18:19], v[108:109], v[18:19]
	v_fma_f64 v[108:109], s[20:21], v[10:11], v[90:91]
	v_fma_f64 v[90:91], v[8:9], s[30:31], -v[88:89]
	v_add_f64 v[30:31], v[90:91], v[30:31]
	v_mul_f64 v[90:91], v[84:85], s[28:29]
	v_fmac_f64_e32 v[88:89], s[30:31], v[8:9]
	v_add_f64 v[28:29], v[88:89], v[28:29]
	v_fma_f64 v[88:89], v[10:11], s[30:31], -v[90:91]
	v_add_f64 v[32:33], v[88:89], v[32:33]
	v_mul_f64 v[88:89], v[86:87], s[40:41]
	v_add_f64 v[26:27], v[108:109], v[26:27]
	;; [unrolled: 10-line block ×3, first 2 shown]
	v_fma_f64 v[108:109], s[24:25], v[10:11], v[90:91]
	v_fma_f64 v[90:91], v[8:9], s[0:1], -v[88:89]
	v_add_f64 v[46:47], v[90:91], v[46:47]
	v_mul_f64 v[90:91], v[84:85], s[34:35]
	v_fmac_f64_e32 v[88:89], s[0:1], v[8:9]
	v_add_f64 v[44:45], v[88:89], v[44:45]
	v_fma_f64 v[88:89], v[10:11], s[0:1], -v[90:91]
	v_mul_f64 v[86:87], v[86:87], s[38:39]
	v_mul_f64 v[84:85], v[84:85], s[38:39]
	v_add_f64 v[42:43], v[108:109], v[42:43]
	v_fma_f64 v[108:109], s[0:1], v[10:11], v[90:91]
	v_add_f64 v[48:49], v[88:89], v[48:49]
	v_fma_f64 v[88:89], v[8:9], s[14:15], -v[86:87]
	v_fma_f64 v[90:91], s[14:15], v[10:11], v[84:85]
	v_fmac_f64_e32 v[86:87], s[14:15], v[8:9]
	v_fma_f64 v[8:9], v[10:11], s[14:15], -v[84:85]
	v_add_f64 v[10:11], v[74:75], v[102:103]
	v_add_f64 v[74:75], v[74:75], -v[102:103]
	v_add_f64 v[6:7], v[8:9], v[6:7]
	v_add_f64 v[8:9], v[72:73], v[100:101]
	v_mul_f64 v[84:85], v[74:75], s[36:37]
	v_add_f64 v[4:5], v[86:87], v[4:5]
	v_add_f64 v[72:73], v[72:73], -v[100:101]
	v_fma_f64 v[86:87], v[8:9], s[0:1], -v[84:85]
	v_add_f64 v[14:15], v[86:87], v[14:15]
	v_mul_f64 v[86:87], v[72:73], s[36:37]
	v_fmac_f64_e32 v[84:85], s[0:1], v[8:9]
	v_add_f64 v[12:13], v[84:85], v[12:13]
	v_fma_f64 v[84:85], v[10:11], s[0:1], -v[86:87]
	v_add_f64 v[16:17], v[84:85], v[16:17]
	v_mul_f64 v[84:85], v[74:75], s[28:29]
	v_fma_f64 v[100:101], s[0:1], v[10:11], v[86:87]
	v_fma_f64 v[86:87], v[8:9], s[30:31], -v[84:85]
	v_add_f64 v[22:23], v[86:87], v[22:23]
	v_mul_f64 v[86:87], v[72:73], s[28:29]
	v_fmac_f64_e32 v[84:85], s[30:31], v[8:9]
	v_add_f64 v[20:21], v[84:85], v[20:21]
	v_fma_f64 v[84:85], v[10:11], s[30:31], -v[86:87]
	v_add_f64 v[24:25], v[84:85], v[24:25]
	v_mul_f64 v[84:85], v[74:75], s[48:49]
	v_add_f64 v[18:19], v[100:101], v[18:19]
	v_fma_f64 v[100:101], s[30:31], v[10:11], v[86:87]
	v_fma_f64 v[86:87], v[8:9], s[20:21], -v[84:85]
	v_add_f64 v[30:31], v[86:87], v[30:31]
	v_mul_f64 v[86:87], v[72:73], s[48:49]
	v_fmac_f64_e32 v[84:85], s[20:21], v[8:9]
	v_add_f64 v[28:29], v[84:85], v[28:29]
	v_fma_f64 v[84:85], v[10:11], s[20:21], -v[86:87]
	v_add_f64 v[32:33], v[84:85], v[32:33]
	v_mul_f64 v[84:85], v[74:75], s[38:39]
	v_add_f64 v[26:27], v[100:101], v[26:27]
	;; [unrolled: 10-line block ×3, first 2 shown]
	v_fma_f64 v[100:101], s[14:15], v[10:11], v[86:87]
	v_fma_f64 v[86:87], v[8:9], s[12:13], -v[84:85]
	v_add_f64 v[46:47], v[86:87], v[46:47]
	v_mul_f64 v[86:87], v[72:73], s[26:27]
	v_fmac_f64_e32 v[84:85], s[12:13], v[8:9]
	v_add_f64 v[44:45], v[84:85], v[44:45]
	v_fma_f64 v[84:85], v[10:11], s[12:13], -v[86:87]
	v_mul_f64 v[74:75], v[74:75], s[22:23]
	v_mul_f64 v[72:73], v[72:73], s[22:23]
	v_add_f64 v[42:43], v[100:101], v[42:43]
	v_fma_f64 v[100:101], s[12:13], v[10:11], v[86:87]
	v_add_f64 v[48:49], v[84:85], v[48:49]
	v_fma_f64 v[84:85], v[8:9], s[24:25], -v[74:75]
	v_fma_f64 v[86:87], s[24:25], v[10:11], v[72:73]
	v_fmac_f64_e32 v[74:75], s[24:25], v[8:9]
	v_fma_f64 v[8:9], v[10:11], s[24:25], -v[72:73]
	v_add_f64 v[10:11], v[70:71], v[78:79]
	v_add_f64 v[70:71], v[70:71], -v[78:79]
	v_add_f64 v[6:7], v[8:9], v[6:7]
	v_add_f64 v[8:9], v[68:69], v[76:77]
	v_mul_f64 v[72:73], v[70:71], s[18:19]
	v_add_f64 v[4:5], v[74:75], v[4:5]
	v_add_f64 v[68:69], v[68:69], -v[76:77]
	v_fma_f64 v[74:75], v[8:9], s[20:21], -v[72:73]
	v_add_f64 v[14:15], v[74:75], v[14:15]
	v_mul_f64 v[74:75], v[68:69], s[18:19]
	v_fmac_f64_e32 v[72:73], s[20:21], v[8:9]
	v_add_f64 v[12:13], v[72:73], v[12:13]
	v_fma_f64 v[72:73], v[10:11], s[20:21], -v[74:75]
	v_add_f64 v[16:17], v[72:73], v[16:17]
	v_mul_f64 v[72:73], v[70:71], s[40:41]
	v_fma_f64 v[76:77], s[20:21], v[10:11], v[74:75]
	v_fma_f64 v[74:75], v[8:9], s[24:25], -v[72:73]
	v_add_f64 v[22:23], v[74:75], v[22:23]
	v_mul_f64 v[74:75], v[68:69], s[40:41]
	v_fmac_f64_e32 v[72:73], s[24:25], v[8:9]
	v_add_f64 v[20:21], v[72:73], v[20:21]
	v_fma_f64 v[72:73], v[10:11], s[24:25], -v[74:75]
	v_add_f64 v[24:25], v[72:73], v[24:25]
	v_mul_f64 v[72:73], v[70:71], s[38:39]
	v_add_f64 v[18:19], v[76:77], v[18:19]
	v_fma_f64 v[76:77], s[24:25], v[10:11], v[74:75]
	v_fma_f64 v[74:75], v[8:9], s[14:15], -v[72:73]
	v_add_f64 v[30:31], v[74:75], v[30:31]
	v_mul_f64 v[74:75], v[68:69], s[38:39]
	v_fmac_f64_e32 v[72:73], s[14:15], v[8:9]
	v_add_f64 v[28:29], v[72:73], v[28:29]
	v_fma_f64 v[72:73], v[10:11], s[14:15], -v[74:75]
	v_add_f64 v[32:33], v[72:73], v[32:33]
	v_mul_f64 v[72:73], v[70:71], s[36:37]
	v_add_f64 v[26:27], v[76:77], v[26:27]
	;; [unrolled: 10-line block ×3, first 2 shown]
	v_fma_f64 v[76:77], s[0:1], v[10:11], v[74:75]
	v_fma_f64 v[74:75], v[8:9], s[30:31], -v[72:73]
	v_add_f64 v[46:47], v[74:75], v[46:47]
	v_mul_f64 v[74:75], v[68:69], s[46:47]
	v_fmac_f64_e32 v[72:73], s[30:31], v[8:9]
	v_add_f64 v[44:45], v[72:73], v[44:45]
	v_fma_f64 v[72:73], v[10:11], s[30:31], -v[74:75]
	v_mul_f64 v[70:71], v[70:71], s[42:43]
	v_mul_f64 v[68:69], v[68:69], s[42:43]
	v_add_f64 v[42:43], v[76:77], v[42:43]
	v_fma_f64 v[76:77], s[30:31], v[10:11], v[74:75]
	v_add_f64 v[48:49], v[72:73], v[48:49]
	v_fma_f64 v[72:73], v[8:9], s[12:13], -v[70:71]
	v_fma_f64 v[74:75], s[12:13], v[10:11], v[68:69]
	v_fmac_f64_e32 v[70:71], s[12:13], v[8:9]
	v_fma_f64 v[8:9], v[10:11], s[12:13], -v[68:69]
	v_add_f64 v[10:11], v[62:63], v[66:67]
	v_add_f64 v[62:63], v[62:63], -v[66:67]
	v_add_f64 v[6:7], v[8:9], v[6:7]
	v_add_f64 v[8:9], v[60:61], v[64:65]
	v_add_f64 v[60:61], v[60:61], -v[64:65]
	v_mul_f64 v[64:65], v[62:63], s[22:23]
	v_fma_f64 v[66:67], v[8:9], s[24:25], -v[64:65]
	v_add_f64 v[14:15], v[66:67], v[14:15]
	v_mul_f64 v[66:67], v[60:61], s[22:23]
	v_fmac_f64_e32 v[64:65], s[24:25], v[8:9]
	v_add_f64 v[12:13], v[64:65], v[12:13]
	v_fma_f64 v[64:65], v[10:11], s[24:25], -v[66:67]
	v_add_f64 v[16:17], v[64:65], v[16:17]
	v_mul_f64 v[64:65], v[62:63], s[34:35]
	v_fma_f64 v[68:69], s[24:25], v[10:11], v[66:67]
	v_fma_f64 v[66:67], v[8:9], s[0:1], -v[64:65]
	v_add_f64 v[22:23], v[66:67], v[22:23]
	v_mul_f64 v[66:67], v[60:61], s[34:35]
	v_fmac_f64_e32 v[64:65], s[0:1], v[8:9]
	v_add_f64 v[20:21], v[64:65], v[20:21]
	v_fma_f64 v[64:65], v[10:11], s[0:1], -v[66:67]
	v_add_f64 v[24:25], v[64:65], v[24:25]
	v_mul_f64 v[64:65], v[62:63], s[26:27]
	v_add_f64 v[18:19], v[68:69], v[18:19]
	v_fma_f64 v[68:69], s[0:1], v[10:11], v[66:67]
	v_fma_f64 v[66:67], v[8:9], s[12:13], -v[64:65]
	v_add_f64 v[30:31], v[66:67], v[30:31]
	v_mul_f64 v[66:67], v[60:61], s[26:27]
	v_fmac_f64_e32 v[64:65], s[12:13], v[8:9]
	v_add_f64 v[28:29], v[64:65], v[28:29]
	v_fma_f64 v[64:65], v[10:11], s[12:13], -v[66:67]
	v_add_f64 v[32:33], v[64:65], v[32:33]
	v_mul_f64 v[64:65], v[62:63], s[46:47]
	v_add_f64 v[26:27], v[68:69], v[26:27]
	;; [unrolled: 10-line block ×3, first 2 shown]
	v_fma_f64 v[68:69], s[30:31], v[10:11], v[66:67]
	v_fma_f64 v[66:67], v[8:9], s[14:15], -v[64:65]
	v_add_f64 v[46:47], v[66:67], v[46:47]
	v_mul_f64 v[66:67], v[60:61], s[38:39]
	v_fmac_f64_e32 v[64:65], s[14:15], v[8:9]
	v_add_f64 v[44:45], v[64:65], v[44:45]
	v_fma_f64 v[64:65], v[10:11], s[14:15], -v[66:67]
	v_mul_f64 v[62:63], v[62:63], s[18:19]
	v_mul_f64 v[60:61], v[60:61], s[18:19]
	v_add_f64 v[42:43], v[68:69], v[42:43]
	v_fma_f64 v[68:69], s[14:15], v[10:11], v[66:67]
	v_add_f64 v[48:49], v[64:65], v[48:49]
	v_fma_f64 v[64:65], v[8:9], s[20:21], -v[62:63]
	v_fma_f64 v[66:67], s[20:21], v[10:11], v[60:61]
	v_fmac_f64_e32 v[62:63], s[20:21], v[8:9]
	v_fma_f64 v[8:9], v[10:11], s[20:21], -v[60:61]
	v_add_f64 v[10:11], v[54:55], v[58:59]
	v_add_f64 v[54:55], v[54:55], -v[58:59]
	v_add_f64 v[6:7], v[8:9], v[6:7]
	v_add_f64 v[8:9], v[52:53], v[56:57]
	v_add_f64 v[52:53], v[52:53], -v[56:57]
	v_mul_f64 v[56:57], v[54:55], s[28:29]
	v_add_f64 v[50:51], v[108:109], v[50:51]
	v_fma_f64 v[58:59], v[8:9], s[30:31], -v[56:57]
	v_add_f64 v[50:51], v[100:101], v[50:51]
	v_add_f64 v[100:101], v[58:59], v[14:15]
	v_mul_f64 v[14:15], v[52:53], s[28:29]
	v_fmac_f64_e32 v[56:57], s[30:31], v[8:9]
	v_add_f64 v[168:169], v[56:57], v[12:13]
	v_fma_f64 v[12:13], v[10:11], s[30:31], -v[14:15]
	v_add_f64 v[170:171], v[12:13], v[16:17]
	v_mul_f64 v[12:13], v[54:55], s[38:39]
	v_fma_f64 v[58:59], s[30:31], v[10:11], v[14:15]
	v_fma_f64 v[14:15], v[8:9], s[14:15], -v[12:13]
	v_add_f64 v[116:117], v[14:15], v[22:23]
	v_mul_f64 v[14:15], v[52:53], s[38:39]
	v_fmac_f64_e32 v[12:13], s[14:15], v[8:9]
	v_add_f64 v[160:161], v[12:13], v[20:21]
	v_fma_f64 v[12:13], v[10:11], s[14:15], -v[14:15]
	v_add_f64 v[162:163], v[12:13], v[24:25]
	v_mul_f64 v[12:13], v[54:55], s[22:23]
	v_fma_f64 v[16:17], s[14:15], v[10:11], v[14:15]
	v_fma_f64 v[14:15], v[8:9], s[24:25], -v[12:13]
	v_add_f64 v[120:121], v[14:15], v[30:31]
	v_mul_f64 v[14:15], v[52:53], s[22:23]
	v_fmac_f64_e32 v[12:13], s[24:25], v[8:9]
	v_add_f64 v[156:157], v[12:13], v[28:29]
	v_fma_f64 v[12:13], v[10:11], s[24:25], -v[14:15]
	v_add_f64 v[158:159], v[12:13], v[32:33]
	v_mul_f64 v[12:13], v[54:55], s[42:43]
	v_add_f64 v[118:119], v[16:17], v[26:27]
	v_fma_f64 v[16:17], s[24:25], v[10:11], v[14:15]
	v_fma_f64 v[14:15], v[8:9], s[12:13], -v[12:13]
	v_add_f64 v[124:125], v[14:15], v[38:39]
	v_mul_f64 v[14:15], v[52:53], s[42:43]
	v_fmac_f64_e32 v[12:13], s[12:13], v[8:9]
	v_add_f64 v[148:149], v[12:13], v[36:37]
	v_fma_f64 v[12:13], v[10:11], s[12:13], -v[14:15]
	v_add_f64 v[150:151], v[12:13], v[40:41]
	v_mul_f64 v[12:13], v[54:55], s[18:19]
	v_add_f64 v[122:123], v[16:17], v[34:35]
	v_fma_f64 v[16:17], s[12:13], v[10:11], v[14:15]
	v_fma_f64 v[14:15], v[8:9], s[20:21], -v[12:13]
	v_add_f64 v[88:89], v[88:89], v[104:105]
	v_add_f64 v[128:129], v[14:15], v[46:47]
	v_mul_f64 v[14:15], v[52:53], s[18:19]
	v_fmac_f64_e32 v[12:13], s[20:21], v[8:9]
	v_add_f64 v[84:85], v[84:85], v[88:89]
	v_add_f64 v[144:145], v[12:13], v[44:45]
	v_fma_f64 v[12:13], v[10:11], s[20:21], -v[14:15]
	s_load_dwordx2 s[4:5], s[4:5], 0x8
	v_add_f64 v[90:91], v[90:91], v[106:107]
	v_add_f64 v[72:73], v[72:73], v[84:85]
	;; [unrolled: 1-line block ×3, first 2 shown]
	v_mul_f64 v[12:13], v[54:55], s[34:35]
	v_add_f64 v[86:87], v[86:87], v[90:91]
	v_add_f64 v[50:51], v[76:77], v[50:51]
	;; [unrolled: 1-line block ×5, first 2 shown]
	v_fma_f64 v[16:17], s[20:21], v[10:11], v[14:15]
	v_fma_f64 v[14:15], v[8:9], s[0:1], -v[12:13]
	v_add_f64 v[74:75], v[74:75], v[86:87]
	v_add_f64 v[50:51], v[68:69], v[50:51]
	;; [unrolled: 1-line block ×4, first 2 shown]
	v_mul_f64 v[14:15], v[52:53], s[34:35]
	v_fmac_f64_e32 v[12:13], s[0:1], v[8:9]
	v_add_f64 v[66:67], v[66:67], v[74:75]
	v_add_f64 v[130:131], v[16:17], v[50:51]
	v_fma_f64 v[16:17], s[0:1], v[10:11], v[14:15]
	v_add_f64 v[136:137], v[12:13], v[4:5]
	v_fma_f64 v[4:5], v[10:11], s[0:1], -v[14:15]
	v_mul_lo_u16_e32 v1, 13, v204
	v_add_f64 v[102:103], v[58:59], v[18:19]
	v_add_f64 v[134:135], v[16:17], v[66:67]
	;; [unrolled: 1-line block ×3, first 2 shown]
	v_lshl_add_u32 v255, v1, 4, v254
	v_mul_u32_u24_e32 v66, 13, v0
	s_waitcnt lgkmcnt(0)
	s_barrier
	ds_write_b128 v255, v[80:83]
	ds_write_b128 v255, v[152:155] offset:16
	ds_write_b128 v255, v[172:175] offset:32
	;; [unrolled: 1-line block ×12, first 2 shown]
	s_and_saveexec_b64 s[0:1], vcc
	s_cbranch_execz .LBB0_7
; %bb.6:
	v_lshl_add_u32 v1, v66, 4, v254
	ds_write_b128 v1, v[96:99]
	ds_write_b128 v1, v[100:103] offset:16
	ds_write_b128 v1, v[116:119] offset:32
	;; [unrolled: 1-line block ×12, first 2 shown]
.LBB0_7:
	s_or_b64 exec, exec, s[0:1]
	s_waitcnt lgkmcnt(0)
	s_barrier
	ds_read_b128 v[140:143], v3
	ds_read_b128 v[112:115], v3 offset:624
	ds_read_b128 v[180:183], v3 offset:2912
	;; [unrolled: 1-line block ×11, first 2 shown]
	v_accvgpr_read_b32 v4, a0
	v_cmp_gt_u16_e64 s[0:1], 26, v4
	s_and_saveexec_b64 s[12:13], s[0:1]
	s_cbranch_execz .LBB0_9
; %bb.8:
	ds_read_b128 v[92:95], v3 offset:2496
	ds_read_b128 v[96:99], v3 offset:5408
	;; [unrolled: 1-line block ×3, first 2 shown]
.LBB0_9:
	s_or_b64 exec, exec, s[12:13]
	s_movk_i32 s12, 0x4f
	v_accvgpr_read_b32 v6, a0
	v_mul_lo_u16_sdwa v1, v6, s12 dst_sel:DWORD dst_unused:UNUSED_PAD src0_sel:BYTE_0 src1_sel:DWORD
	v_lshrrev_b16_e32 v52, 10, v1
	v_mul_lo_u16_e32 v1, 13, v52
	v_sub_u16_e32 v53, v6, v1
	v_mov_b32_e32 v1, 5
	v_lshlrev_b32_sdwa v4, v1, v53 dst_sel:DWORD dst_unused:UNUSED_PAD src0_sel:DWORD src1_sel:BYTE_0
	global_load_dwordx4 v[46:49], v4, s[4:5] offset:16
	global_load_dwordx4 v[200:203], v4, s[4:5]
	v_mul_lo_u16_sdwa v4, v0, s12 dst_sel:DWORD dst_unused:UNUSED_PAD src0_sel:BYTE_0 src1_sel:DWORD
	v_lshrrev_b16_e32 v54, 10, v4
	v_mul_lo_u16_e32 v4, 13, v54
	v_sub_u16_e32 v55, v0, v4
	v_lshlrev_b32_sdwa v0, v1, v55 dst_sel:DWORD dst_unused:UNUSED_PAD src0_sel:DWORD src1_sel:BYTE_0
	global_load_dwordx4 v[68:71], v0, s[4:5] offset:16
	global_load_dwordx4 v[72:75], v0, s[4:5]
	v_add_u16_e32 v0, 0x4e, v6
	v_mul_lo_u16_sdwa v4, v0, s12 dst_sel:DWORD dst_unused:UNUSED_PAD src0_sel:BYTE_0 src1_sel:DWORD
	v_lshrrev_b16_e32 v56, 10, v4
	v_mul_lo_u16_e32 v4, 13, v56
	v_sub_u16_e32 v57, v0, v4
	v_lshlrev_b32_sdwa v0, v1, v57 dst_sel:DWORD dst_unused:UNUSED_PAD src0_sel:DWORD src1_sel:BYTE_0
	global_load_dwordx4 v[76:79], v0, s[4:5] offset:16
	global_load_dwordx4 v[80:83], v0, s[4:5]
	v_add_u16_e32 v0, 0x75, v6
	;; [unrolled: 8-line block ×3, first 2 shown]
	v_mul_lo_u16_sdwa v4, v0, s12 dst_sel:DWORD dst_unused:UNUSED_PAD src0_sel:BYTE_0 src1_sel:DWORD
	v_lshrrev_b16_e32 v60, 10, v4
	v_mul_lo_u16_e32 v4, 13, v60
	v_sub_u16_e32 v61, v0, v4
	v_lshlrev_b32_sdwa v0, v1, v61 dst_sel:DWORD dst_unused:UNUSED_PAD src0_sel:DWORD src1_sel:BYTE_0
	global_load_dwordx4 v[196:199], v0, s[4:5]
	global_load_dwordx4 v[62:65], v0, s[4:5] offset:16
	s_mov_b32 s12, 0xe8584caa
	s_mov_b32 s13, 0x3febb67a
	;; [unrolled: 1-line block ×4, first 2 shown]
	s_waitcnt lgkmcnt(0)
	s_barrier
	v_mul_u32_u24_e32 v2, 39, v60
	s_waitcnt vmcnt(9)
	v_mul_f64 v[8:9], v[186:187], v[48:49]
	s_waitcnt vmcnt(8)
	v_mul_f64 v[6:7], v[182:183], v[202:203]
	v_mul_f64 v[10:11], v[180:181], v[202:203]
	;; [unrolled: 1-line block ×3, first 2 shown]
	v_fma_f64 v[42:43], v[180:181], v[200:201], -v[6:7]
	v_fma_f64 v[44:45], v[184:185], v[46:47], -v[8:9]
	v_accvgpr_write_b32 a67, v49
	s_waitcnt vmcnt(7)
	v_mul_f64 v[18:19], v[166:167], v[70:71]
	v_fmac_f64_e32 v[10:11], v[182:183], v[200:201]
	v_accvgpr_write_b32 a66, v48
	v_accvgpr_write_b32 a65, v47
	;; [unrolled: 1-line block ×3, first 2 shown]
	v_fmac_f64_e32 v[12:13], v[186:187], v[46:47]
	s_waitcnt vmcnt(6)
	v_mul_f64 v[14:15], v[154:155], v[74:75]
	s_waitcnt vmcnt(4)
	v_mul_f64 v[20:21], v[190:191], v[82:83]
	v_fma_f64 v[48:49], v[188:189], v[80:81], -v[20:21]
	v_add_f64 v[20:21], v[42:43], v[44:45]
	v_fma_f64 v[46:47], v[164:165], v[68:69], -v[18:19]
	v_add_f64 v[18:19], v[140:141], v[42:43]
	v_fmac_f64_e32 v[140:141], -0.5, v[20:21]
	v_add_f64 v[20:21], v[142:143], v[10:11]
	s_waitcnt vmcnt(2)
	v_mul_f64 v[24:25], v[174:175], v[90:91]
	v_fma_f64 v[180:181], v[172:173], v[88:89], -v[24:25]
	v_add_f64 v[24:25], v[10:11], -v[12:13]
	v_add_f64 v[10:11], v[10:11], v[12:13]
	v_mul_f64 v[22:23], v[194:195], v[78:79]
	v_fma_f64 v[14:15], v[152:153], v[72:73], -v[14:15]
	v_fmac_f64_e32 v[142:143], -0.5, v[10:11]
	v_add_f64 v[10:11], v[42:43], -v[44:45]
	v_mul_f64 v[16:17], v[152:153], v[74:75]
	v_mul_f64 v[26:27], v[164:165], v[70:71]
	s_waitcnt vmcnt(1)
	v_mul_f64 v[38:39], v[98:99], v[198:199]
	v_fma_f64 v[50:51], v[192:193], v[76:77], -v[22:23]
	v_fma_f64 v[22:23], s[12:13], v[24:25], v[140:141]
	v_fmac_f64_e32 v[140:141], s[14:15], v[24:25]
	v_fma_f64 v[24:25], s[14:15], v[10:11], v[142:143]
	v_fmac_f64_e32 v[142:143], s[12:13], v[10:11]
	v_add_f64 v[10:11], v[112:113], v[14:15]
	v_mul_f64 v[0:1], v[96:97], v[198:199]
	v_fmac_f64_e32 v[16:17], v[154:155], v[72:73]
	v_fmac_f64_e32 v[26:27], v[166:167], v[68:69]
	v_fma_f64 v[6:7], v[96:97], v[196:197], -v[38:39]
	v_add_f64 v[96:97], v[10:11], v[46:47]
	v_add_f64 v[10:11], v[14:15], v[46:47]
	s_waitcnt vmcnt(0)
	v_mul_f64 v[40:41], v[102:103], v[64:65]
	v_fmac_f64_e32 v[112:113], -0.5, v[10:11]
	v_add_f64 v[10:11], v[16:17], -v[26:27]
	v_mul_f64 v[4:5], v[100:101], v[64:65]
	v_fma_f64 v[8:9], v[100:101], v[62:63], -v[40:41]
	v_fma_f64 v[100:101], s[12:13], v[10:11], v[112:113]
	v_fmac_f64_e32 v[112:113], s[14:15], v[10:11]
	v_add_f64 v[10:11], v[114:115], v[16:17]
	v_fmac_f64_e32 v[0:1], v[98:99], v[196:197]
	v_add_f64 v[98:99], v[10:11], v[26:27]
	v_add_f64 v[10:11], v[16:17], v[26:27]
	v_fmac_f64_e32 v[114:115], -0.5, v[10:11]
	v_add_f64 v[10:11], v[14:15], -v[46:47]
	v_mul_f64 v[28:29], v[188:189], v[82:83]
	v_mul_f64 v[30:31], v[192:193], v[78:79]
	v_fmac_f64_e32 v[4:5], v[102:103], v[62:63]
	v_fma_f64 v[102:103], s[14:15], v[10:11], v[114:115]
	v_fmac_f64_e32 v[114:115], s[12:13], v[10:11]
	v_add_f64 v[10:11], v[108:109], v[48:49]
	v_fmac_f64_e32 v[28:29], v[190:191], v[80:81]
	v_fmac_f64_e32 v[30:31], v[194:195], v[76:77]
	v_add_f64 v[152:153], v[10:11], v[50:51]
	v_add_f64 v[10:11], v[48:49], v[50:51]
	v_fmac_f64_e32 v[108:109], -0.5, v[10:11]
	v_add_f64 v[10:11], v[28:29], -v[30:31]
	v_fma_f64 v[164:165], s[12:13], v[10:11], v[108:109]
	v_fmac_f64_e32 v[108:109], s[14:15], v[10:11]
	v_add_f64 v[10:11], v[110:111], v[28:29]
	v_add_f64 v[154:155], v[10:11], v[30:31]
	v_add_f64 v[10:11], v[28:29], v[30:31]
	v_mul_f64 v[34:35], v[178:179], v[86:87]
	v_fmac_f64_e32 v[110:111], -0.5, v[10:11]
	v_add_f64 v[10:11], v[48:49], -v[50:51]
	v_mul_u32_u24_e32 v26, 39, v52
	v_mul_f64 v[32:33], v[172:173], v[90:91]
	v_mul_f64 v[36:37], v[176:177], v[86:87]
	v_fma_f64 v[34:35], v[176:177], v[84:85], -v[34:35]
	v_fma_f64 v[166:167], s[14:15], v[10:11], v[110:111]
	v_fmac_f64_e32 v[110:111], s[12:13], v[10:11]
	v_add_f64 v[10:11], v[104:105], v[180:181]
	v_add_u32_sdwa v26, v26, v53 dst_sel:DWORD dst_unused:UNUSED_PAD src0_sel:DWORD src1_sel:BYTE_0
	v_fmac_f64_e32 v[32:33], v[174:175], v[88:89]
	v_fmac_f64_e32 v[36:37], v[178:179], v[84:85]
	v_add_f64 v[18:19], v[18:19], v[44:45]
	v_add_f64 v[20:21], v[20:21], v[12:13]
	;; [unrolled: 1-line block ×4, first 2 shown]
	v_lshl_add_u32 v53, v26, 4, v254
	v_fmac_f64_e32 v[104:105], -0.5, v[10:11]
	v_add_f64 v[10:11], v[32:33], -v[36:37]
	ds_write_b128 v53, v[18:21]
	ds_write_b128 v53, v[22:25] offset:208
	ds_write_b128 v53, v[140:143] offset:416
	v_mul_u32_u24_e32 v18, 39, v54
	v_fma_f64 v[176:177], s[12:13], v[10:11], v[104:105]
	v_fmac_f64_e32 v[104:105], s[14:15], v[10:11]
	v_add_f64 v[10:11], v[106:107], v[32:33]
	v_add_u32_sdwa v18, v18, v55 dst_sel:DWORD dst_unused:UNUSED_PAD src0_sel:DWORD src1_sel:BYTE_0
	v_add_f64 v[174:175], v[10:11], v[36:37]
	v_add_f64 v[10:11], v[32:33], v[36:37]
	v_lshl_add_u32 v54, v18, 4, v254
	v_mul_u32_u24_e32 v18, 39, v56
	v_fmac_f64_e32 v[106:107], -0.5, v[10:11]
	v_add_f64 v[10:11], v[180:181], -v[34:35]
	v_add_u32_sdwa v18, v18, v57 dst_sel:DWORD dst_unused:UNUSED_PAD src0_sel:DWORD src1_sel:BYTE_0
	v_fma_f64 v[178:179], s[14:15], v[10:11], v[106:107]
	v_fmac_f64_e32 v[106:107], s[12:13], v[10:11]
	v_add_f64 v[10:11], v[6:7], v[8:9]
	v_add_f64 v[14:15], v[0:1], v[4:5]
	v_lshl_add_u32 v55, v18, 4, v254
	v_mul_u32_u24_e32 v18, 39, v58
	v_accvgpr_write_b32 a68, v200
	v_accvgpr_write_b32 a58, v196
	v_fma_f64 v[10:11], -0.5, v[10:11], v[92:93]
	v_add_f64 v[12:13], v[0:1], -v[4:5]
	v_fma_f64 v[14:15], -0.5, v[14:15], v[94:95]
	v_add_f64 v[16:17], v[6:7], -v[8:9]
	v_add_u32_sdwa v18, v18, v59 dst_sel:DWORD dst_unused:UNUSED_PAD src0_sel:DWORD src1_sel:BYTE_0
	v_accvgpr_write_b32 a69, v201
	v_accvgpr_write_b32 a70, v202
	;; [unrolled: 1-line block ×6, first 2 shown]
	v_fma_f64 v[188:189], s[14:15], v[12:13], v[10:11]
	v_fma_f64 v[190:191], s[12:13], v[16:17], v[14:15]
	v_lshl_add_u32 v56, v18, 4, v254
	ds_write_b128 v54, v[96:99]
	ds_write_b128 v54, v[100:103] offset:208
	ds_write_b128 v54, v[112:115] offset:416
	ds_write_b128 v55, v[152:155]
	ds_write_b128 v55, v[164:167] offset:208
	ds_write_b128 v55, v[108:111] offset:416
	;; [unrolled: 3-line block ×3, first 2 shown]
	s_and_saveexec_b64 s[14:15], s[0:1]
	s_cbranch_execz .LBB0_11
; %bb.10:
	v_add_f64 v[0:1], v[94:95], v[0:1]
	v_mul_f64 v[18:19], v[12:13], s[12:13]
	v_mul_f64 v[12:13], v[16:17], s[12:13]
	v_add_f64 v[16:17], v[0:1], v[4:5]
	v_add_f64 v[0:1], v[92:93], v[6:7]
	v_add_f64 v[12:13], v[14:15], -v[12:13]
	v_add_f64 v[14:15], v[0:1], v[8:9]
	v_add_u32_sdwa v0, v2, v61 dst_sel:DWORD dst_unused:UNUSED_PAD src0_sel:DWORD src1_sel:BYTE_0
	v_lshl_add_u32 v0, v0, 4, v254
	v_add_f64 v[10:11], v[18:19], v[10:11]
	ds_write_b128 v0, v[14:17]
	ds_write_b128 v0, v[10:13] offset:208
	ds_write_b128 v0, v[188:191] offset:416
.LBB0_11:
	s_or_b64 exec, exec, s[14:15]
	v_mov_b32_e32 v0, s17
	v_addc_co_u32_e64 v224, s[2:3], 0, v0, s[2:3]
	s_movk_i32 s2, 0x60
	v_pk_mov_b32 v[0:1], s[4:5], s[4:5] op_sel:[0,1]
	v_accvgpr_read_b32 v52, a0
	v_mad_u64_u32 v[0:1], s[2:3], v52, s2, v[0:1]
	s_waitcnt lgkmcnt(0)
	s_barrier
	ds_read_b128 v[152:155], v3
	ds_read_b128 v[4:7], v3 offset:1248
	ds_read_b128 v[14:17], v3 offset:2496
	;; [unrolled: 1-line block ×13, first 2 shown]
	global_load_dwordx4 v[92:95], v[0:1], off offset:464
	global_load_dwordx4 v[96:99], v[0:1], off offset:448
	;; [unrolled: 1-line block ×4, first 2 shown]
	s_mov_b32 s4, 0x37e14327
	s_mov_b32 s2, 0x36b3c0b5
	;; [unrolled: 1-line block ×20, first 2 shown]
	s_waitcnt vmcnt(3) lgkmcnt(9)
	v_mul_f64 v[26:27], v[104:105], v[94:95]
	v_fmac_f64_e32 v[26:27], v[106:107], v[92:93]
	s_waitcnt vmcnt(2) lgkmcnt(3)
	v_mul_f64 v[36:37], v[182:183], v[98:99]
	s_waitcnt vmcnt(0)
	v_mul_f64 v[8:9], v[6:7], v[110:111]
	v_fma_f64 v[8:9], v[4:5], v[108:109], -v[8:9]
	v_mul_f64 v[10:11], v[4:5], v[110:111]
	v_mul_f64 v[4:5], v[16:17], v[102:103]
	v_fma_f64 v[12:13], v[14:15], v[100:101], -v[4:5]
	v_mul_f64 v[14:15], v[14:15], v[102:103]
	v_mul_f64 v[4:5], v[20:21], v[98:99]
	v_fmac_f64_e32 v[14:15], v[16:17], v[100:101]
	v_fma_f64 v[16:17], v[18:19], v[96:97], -v[4:5]
	v_mul_f64 v[4:5], v[106:107], v[94:95]
	v_fma_f64 v[24:25], v[104:105], v[92:93], -v[4:5]
	global_load_dwordx4 v[104:107], v[0:1], off offset:496
	global_load_dwordx4 v[112:115], v[0:1], off offset:480
	v_fmac_f64_e32 v[10:11], v[6:7], v[108:109]
	v_mul_f64 v[18:19], v[18:19], v[98:99]
	v_fmac_f64_e32 v[18:19], v[20:21], v[96:97]
	v_mul_f64 v[20:21], v[186:187], v[102:103]
	v_mul_f64 v[38:39], v[180:181], v[98:99]
	s_waitcnt lgkmcnt(2)
	v_mul_f64 v[40:41], v[178:179], v[94:95]
	v_mul_f64 v[42:43], v[176:177], v[94:95]
	v_fma_f64 v[20:21], v[184:185], v[100:101], -v[20:21]
	v_mul_f64 v[22:23], v[184:185], v[102:103]
	v_fma_f64 v[36:37], v[180:181], v[96:97], -v[36:37]
	v_fmac_f64_e32 v[38:39], v[182:183], v[96:97]
	v_fma_f64 v[40:41], v[176:177], v[92:93], -v[40:41]
	v_fmac_f64_e32 v[42:43], v[178:179], v[92:93]
	v_mul_f64 v[6:7], v[192:193], v[110:111]
	v_fmac_f64_e32 v[6:7], v[194:195], v[108:109]
	v_fmac_f64_e32 v[22:23], v[186:187], v[100:101]
	s_waitcnt lgkmcnt(0)
	s_barrier
	s_waitcnt vmcnt(1)
	v_mul_f64 v[34:35], v[196:197], v[106:107]
	s_waitcnt vmcnt(0)
	v_mul_f64 v[4:5], v[202:203], v[114:115]
	v_fma_f64 v[28:29], v[200:201], v[112:113], -v[4:5]
	v_mul_f64 v[4:5], v[198:199], v[106:107]
	v_mul_f64 v[30:31], v[200:201], v[114:115]
	v_fma_f64 v[32:33], v[196:197], v[104:105], -v[4:5]
	v_mul_f64 v[48:49], v[166:167], v[106:107]
	v_fmac_f64_e32 v[30:31], v[202:203], v[112:113]
	v_fmac_f64_e32 v[34:35], v[198:199], v[104:105]
	v_fma_f64 v[48:49], v[164:165], v[104:105], -v[48:49]
	v_mul_f64 v[50:51], v[164:165], v[106:107]
	v_add_f64 v[164:165], v[8:9], v[32:33]
	v_add_f64 v[8:9], v[8:9], -v[32:33]
	v_add_f64 v[32:33], v[12:13], v[28:29]
	v_fmac_f64_e32 v[50:51], v[166:167], v[104:105]
	v_add_f64 v[166:167], v[10:11], v[34:35]
	v_add_f64 v[10:11], v[10:11], -v[34:35]
	v_add_f64 v[34:35], v[14:15], v[30:31]
	v_add_f64 v[12:13], v[12:13], -v[28:29]
	;; [unrolled: 2-line block ×5, first 2 shown]
	v_add_f64 v[26:27], v[34:35], v[166:167]
	v_add_f64 v[24:25], v[28:29], v[24:25]
	v_mul_f64 v[44:45], v[174:175], v[114:115]
	v_mul_f64 v[46:47], v[172:173], v[114:115]
	v_add_f64 v[26:27], v[30:31], v[26:27]
	v_add_f64 v[152:153], v[152:153], v[24:25]
	v_fma_f64 v[44:45], v[172:173], v[112:113], -v[44:45]
	v_fmac_f64_e32 v[46:47], v[174:175], v[112:113]
	v_add_f64 v[172:173], v[32:33], -v[164:165]
	v_add_f64 v[174:175], v[34:35], -v[166:167]
	v_add_f64 v[164:165], v[164:165], -v[28:29]
	v_add_f64 v[166:167], v[166:167], -v[30:31]
	v_add_f64 v[32:33], v[28:29], -v[32:33]
	v_add_f64 v[34:35], v[30:31], -v[34:35]
	v_add_f64 v[176:177], v[16:17], v[12:13]
	v_add_f64 v[178:179], v[18:19], v[14:15]
	v_add_f64 v[180:181], v[16:17], -v[12:13]
	v_add_f64 v[182:183], v[18:19], -v[14:15]
	;; [unrolled: 1-line block ×4, first 2 shown]
	v_add_f64 v[154:155], v[154:155], v[26:27]
	v_pk_mov_b32 v[184:185], v[152:153], v[152:153] op_sel:[0,1]
	v_add_f64 v[16:17], v[8:9], -v[16:17]
	v_add_f64 v[18:19], v[10:11], -v[18:19]
	v_add_f64 v[8:9], v[176:177], v[8:9]
	v_add_f64 v[10:11], v[178:179], v[10:11]
	v_mul_f64 v[28:29], v[164:165], s[4:5]
	v_mul_f64 v[30:31], v[166:167], s[4:5]
	;; [unrolled: 1-line block ×8, first 2 shown]
	v_fmac_f64_e32 v[184:185], s[16:17], v[24:25]
	v_pk_mov_b32 v[24:25], v[154:155], v[154:155] op_sel:[0,1]
	v_mul_f64 v[4:5], v[194:195], v[110:111]
	v_fmac_f64_e32 v[24:25], s[16:17], v[26:27]
	v_fma_f64 v[26:27], v[172:173], s[18:19], -v[164:165]
	v_fma_f64 v[164:165], v[174:175], s[18:19], -v[166:167]
	;; [unrolled: 1-line block ×3, first 2 shown]
	v_fmac_f64_e32 v[28:29], s[2:3], v[32:33]
	v_fma_f64 v[32:33], v[174:175], s[20:21], -v[30:31]
	v_fmac_f64_e32 v[30:31], s[2:3], v[34:35]
	v_fma_f64 v[34:35], v[12:13], s[12:13], -v[176:177]
	v_fma_f64 v[172:173], v[14:15], s[12:13], -v[178:179]
	v_fmac_f64_e32 v[178:179], s[22:23], v[18:19]
	v_fma_f64 v[174:175], v[16:17], s[26:27], -v[180:181]
	v_fma_f64 v[180:181], v[18:19], s[26:27], -v[182:183]
	;; [unrolled: 1-line block ×3, first 2 shown]
	v_fmac_f64_e32 v[176:177], s[22:23], v[16:17]
	v_add_f64 v[28:29], v[28:29], v[184:185]
	v_add_f64 v[26:27], v[26:27], v[184:185]
	;; [unrolled: 1-line block ×5, first 2 shown]
	v_fmac_f64_e32 v[178:179], s[24:25], v[10:11]
	v_fmac_f64_e32 v[34:35], s[24:25], v[8:9]
	;; [unrolled: 1-line block ×5, first 2 shown]
	v_add_f64 v[30:31], v[30:31], v[24:25]
	v_fmac_f64_e32 v[176:177], s[24:25], v[8:9]
	v_add_f64 v[8:9], v[178:179], v[28:29]
	v_add_f64 v[12:13], v[180:181], v[166:167]
	v_add_f64 v[14:15], v[32:33], -v[174:175]
	v_add_f64 v[16:17], v[26:27], -v[172:173]
	v_add_f64 v[18:19], v[34:35], v[164:165]
	v_add_f64 v[24:25], v[172:173], v[26:27]
	v_add_f64 v[26:27], v[164:165], -v[34:35]
	v_add_f64 v[164:165], v[166:167], -v[180:181]
	v_add_f64 v[166:167], v[174:175], v[32:33]
	v_add_f64 v[172:173], v[28:29], -v[178:179]
	v_add_f64 v[28:29], v[4:5], v[48:49]
	v_add_f64 v[32:33], v[20:21], v[44:45]
	v_add_f64 v[10:11], v[30:31], -v[176:177]
	v_add_f64 v[174:175], v[176:177], v[30:31]
	v_add_f64 v[30:31], v[6:7], v[50:51]
	;; [unrolled: 1-line block ×3, first 2 shown]
	v_add_f64 v[20:21], v[20:21], -v[44:45]
	v_add_f64 v[44:45], v[36:37], v[40:41]
	v_add_f64 v[36:37], v[40:41], -v[36:37]
	v_add_f64 v[40:41], v[32:33], v[28:29]
	v_add_f64 v[4:5], v[4:5], -v[48:49]
	v_add_f64 v[22:23], v[22:23], -v[46:47]
	v_add_f64 v[46:47], v[38:39], v[42:43]
	v_add_f64 v[38:39], v[42:43], -v[38:39]
	v_add_f64 v[42:43], v[34:35], v[30:31]
	v_add_f64 v[176:177], v[36:37], v[20:21]
	;; [unrolled: 1-line block ×3, first 2 shown]
	v_add_f64 v[6:7], v[6:7], -v[50:51]
	v_add_f64 v[48:49], v[32:33], -v[28:29]
	v_add_f64 v[28:29], v[28:29], -v[44:45]
	v_add_f64 v[32:33], v[44:45], -v[32:33]
	v_add_f64 v[178:179], v[38:39], v[22:23]
	v_add_f64 v[180:181], v[36:37], -v[20:21]
	v_add_f64 v[182:183], v[38:39], -v[22:23]
	;; [unrolled: 1-line block ×4, first 2 shown]
	v_add_f64 v[42:43], v[46:47], v[42:43]
	v_add_f64 v[44:45], v[176:177], v[4:5]
	;; [unrolled: 1-line block ×3, first 2 shown]
	v_add_f64 v[50:51], v[34:35], -v[30:31]
	v_add_f64 v[30:31], v[30:31], -v[46:47]
	;; [unrolled: 1-line block ×5, first 2 shown]
	v_add_f64 v[46:47], v[178:179], v[6:7]
	v_add_f64 v[6:7], v[142:143], v[42:43]
	v_mul_f64 v[192:193], v[182:183], s[14:15]
	v_pk_mov_b32 v[182:183], v[4:5], v[4:5] op_sel:[0,1]
	v_mul_f64 v[28:29], v[28:29], s[4:5]
	v_mul_f64 v[30:31], v[30:31], s[4:5]
	;; [unrolled: 1-line block ×7, first 2 shown]
	v_fmac_f64_e32 v[182:183], s[16:17], v[40:41]
	v_pk_mov_b32 v[40:41], v[6:7], v[6:7] op_sel:[0,1]
	v_fmac_f64_e32 v[40:41], s[16:17], v[42:43]
	v_fma_f64 v[32:33], s[2:3], v[32:33], v[28:29]
	v_fma_f64 v[42:43], v[48:49], s[18:19], -v[140:141]
	v_fma_f64 v[140:141], v[50:51], s[18:19], -v[142:143]
	;; [unrolled: 1-line block ×4, first 2 shown]
	v_fmac_f64_e32 v[30:31], s[2:3], v[34:35]
	v_fma_f64 v[34:35], s[22:23], v[36:37], v[176:177]
	v_fma_f64 v[50:51], v[20:21], s[12:13], -v[176:177]
	v_fma_f64 v[184:185], v[22:23], s[12:13], -v[192:193]
	v_fmac_f64_e32 v[192:193], s[22:23], v[38:39]
	v_fma_f64 v[36:37], v[36:37], s[26:27], -v[178:179]
	v_fma_f64 v[38:39], v[38:39], s[26:27], -v[180:181]
	v_add_f64 v[32:33], v[32:33], v[182:183]
	v_add_f64 v[30:31], v[30:31], v[40:41]
	;; [unrolled: 1-line block ×6, first 2 shown]
	v_fmac_f64_e32 v[34:35], s[24:25], v[44:45]
	v_fmac_f64_e32 v[192:193], s[24:25], v[46:47]
	;; [unrolled: 1-line block ×6, first 2 shown]
	v_add_f64 v[20:21], v[192:193], v[32:33]
	v_add_f64 v[22:23], v[30:31], -v[34:35]
	v_add_f64 v[140:141], v[38:39], v[28:29]
	v_add_f64 v[142:143], v[40:41], -v[36:37]
	v_add_f64 v[176:177], v[42:43], -v[184:185]
	v_add_f64 v[178:179], v[50:51], v[186:187]
	v_add_f64 v[180:181], v[184:185], v[42:43]
	v_add_f64 v[182:183], v[186:187], -v[50:51]
	v_add_f64 v[184:185], v[28:29], -v[38:39]
	v_add_f64 v[186:187], v[36:37], v[40:41]
	v_add_f64 v[192:193], v[32:33], -v[192:193]
	v_add_f64 v[194:195], v[34:35], v[30:31]
	ds_write_b128 v3, v[152:155]
	ds_write_b128 v3, v[8:11] offset:624
	ds_write_b128 v3, v[12:15] offset:1248
	;; [unrolled: 1-line block ×13, first 2 shown]
	v_mul_i32_i24_e32 v25, 0xffffffb0, v52
	v_mul_hi_i32_i24_e32 v24, 0xffffffb0, v52
	v_add_co_u32_e64 v0, s[2:3], v0, v25
	v_addc_co_u32_e64 v1, s[2:3], v1, v24, s[2:3]
	s_movk_i32 s12, 0x1000
	v_add_co_u32_e64 v0, s[2:3], s12, v0
	v_addc_co_u32_e64 v1, s[2:3], 0, v1, s[2:3]
	s_waitcnt lgkmcnt(0)
	s_barrier
	ds_read_b128 v[216:219], v3
	ds_read_b128 v[4:7], v3 offset:4368
	ds_read_b128 v[212:215], v3 offset:624
	;; [unrolled: 1-line block ×13, first 2 shown]
	global_load_dwordx4 v[140:143], v[0:1], off offset:64
	global_load_dwordx4 v[152:155], v[0:1], off offset:688
	global_load_dwordx4 v[164:167], v[0:1], off offset:1312
	global_load_dwordx4 v[172:175], v[0:1], off offset:1936
	global_load_dwordx4 v[176:179], v[0:1], off offset:2560
	global_load_dwordx4 v[180:183], v[0:1], off offset:3184
	s_movk_i32 s2, 0x2220
	s_movk_i32 s13, 0x2000
	s_waitcnt vmcnt(5) lgkmcnt(12)
	v_mul_f64 v[24:25], v[6:7], v[142:143]
	v_fma_f64 v[24:25], v[4:5], v[140:141], -v[24:25]
	v_mul_f64 v[26:27], v[4:5], v[142:143]
	s_waitcnt vmcnt(4) lgkmcnt(10)
	v_mul_f64 v[4:5], v[10:11], v[154:155]
	v_fma_f64 v[28:29], v[8:9], v[152:153], -v[4:5]
	s_waitcnt vmcnt(3) lgkmcnt(8)
	v_mul_f64 v[4:5], v[14:15], v[166:167]
	v_fma_f64 v[32:33], v[12:13], v[164:165], -v[4:5]
	;; [unrolled: 3-line block ×4, first 2 shown]
	s_waitcnt vmcnt(0) lgkmcnt(2)
	v_mul_f64 v[4:5], v[186:187], v[182:183]
	v_mul_f64 v[46:47], v[184:185], v[182:183]
	v_fma_f64 v[44:45], v[184:185], v[180:181], -v[4:5]
	v_fmac_f64_e32 v[46:47], v[186:187], v[180:181]
	global_load_dwordx4 v[184:187], v[0:1], off offset:3808
	v_fmac_f64_e32 v[26:27], v[6:7], v[140:141]
	v_mul_f64 v[30:31], v[8:9], v[154:155]
	v_add_f64 v[4:5], v[216:217], -v[24:25]
	v_add_f64 v[6:7], v[218:219], -v[26:27]
	v_fmac_f64_e32 v[30:31], v[10:11], v[152:153]
	v_mul_f64 v[34:35], v[12:13], v[166:167]
	v_mul_f64 v[38:39], v[16:17], v[174:175]
	;; [unrolled: 1-line block ×3, first 2 shown]
	v_fma_f64 v[8:9], v[216:217], 2.0, -v[4:5]
	v_fma_f64 v[10:11], v[218:219], 2.0, -v[6:7]
	v_fmac_f64_e32 v[34:35], v[14:15], v[164:165]
	v_fmac_f64_e32 v[38:39], v[18:19], v[172:173]
	;; [unrolled: 1-line block ×3, first 2 shown]
	v_add_f64 v[12:13], v[212:213], -v[28:29]
	v_add_f64 v[14:15], v[214:215], -v[30:31]
	ds_write_b128 v3, v[8:11]
	v_fma_f64 v[16:17], v[212:213], 2.0, -v[12:13]
	v_fma_f64 v[18:19], v[214:215], 2.0, -v[14:15]
	v_add_f64 v[20:21], v[208:209], -v[32:33]
	v_add_f64 v[22:23], v[210:211], -v[34:35]
	;; [unrolled: 1-line block ×6, first 2 shown]
	v_lshl_add_u32 v26, v52, 4, v254
	v_fma_f64 v[208:209], v[208:209], 2.0, -v[20:21]
	v_fma_f64 v[210:211], v[210:211], 2.0, -v[22:23]
	;; [unrolled: 1-line block ×6, first 2 shown]
	s_waitcnt vmcnt(0) lgkmcnt(1)
	v_mul_f64 v[0:1], v[222:223], v[186:187]
	v_fma_f64 v[0:1], v[220:221], v[184:185], -v[0:1]
	v_mul_f64 v[48:49], v[220:221], v[186:187]
	v_add_f64 v[220:221], v[192:193], -v[44:45]
	v_fma_f64 v[226:227], v[192:193], 2.0, -v[220:221]
	v_add_f64 v[192:193], v[196:197], -v[0:1]
	v_add_co_u32_e64 v0, s[2:3], s2, v252
	v_addc_co_u32_e64 v1, s[2:3], 0, v224, s[2:3]
	v_fmac_f64_e32 v[48:49], v[222:223], v[184:185]
	v_add_f64 v[222:223], v[194:195], -v[46:47]
	v_add_co_u32_e64 v8, s[2:3], s13, v252
	v_fma_f64 v[228:229], v[194:195], 2.0, -v[222:223]
	v_add_f64 v[194:195], v[198:199], -v[48:49]
	v_addc_co_u32_e64 v9, s[2:3], 0, v224, s[2:3]
	v_fma_f64 v[196:197], v[196:197], 2.0, -v[192:193]
	v_fma_f64 v[198:199], v[198:199], 2.0, -v[194:195]
	ds_write_b128 v26, v[4:7] offset:4368
	ds_write_b128 v26, v[16:19] offset:624
	;; [unrolled: 1-line block ×13, first 2 shown]
	s_waitcnt lgkmcnt(0)
	s_barrier
	global_load_dwordx4 v[8:11], v[8:9], off offset:544
	ds_read_b128 v[4:7], v3
	s_movk_i32 s2, 0x3000
	v_add_co_u32_e64 v16, s[2:3], s2, v252
	v_addc_co_u32_e64 v17, s[2:3], 0, v224, s[2:3]
	s_movk_i32 s2, 0x4000
	s_waitcnt vmcnt(0) lgkmcnt(0)
	v_mul_f64 v[12:13], v[6:7], v[10:11]
	v_mul_f64 v[14:15], v[4:5], v[10:11]
	v_fma_f64 v[12:13], v[4:5], v[8:9], -v[12:13]
	v_fmac_f64_e32 v[14:15], v[6:7], v[8:9]
	global_load_dwordx4 v[8:11], v[0:1], off offset:672
	ds_read_b128 v[4:7], v3 offset:672
	ds_write_b128 v3, v[12:15]
	s_waitcnt vmcnt(0) lgkmcnt(1)
	v_mul_f64 v[12:13], v[6:7], v[10:11]
	v_mul_f64 v[14:15], v[4:5], v[10:11]
	v_fma_f64 v[12:13], v[4:5], v[8:9], -v[12:13]
	v_fmac_f64_e32 v[14:15], v[6:7], v[8:9]
	global_load_dwordx4 v[8:11], v[0:1], off offset:1344
	ds_read_b128 v[4:7], v3 offset:1344
	ds_write_b128 v3, v[12:15] offset:672
	s_waitcnt vmcnt(0) lgkmcnt(1)
	v_mul_f64 v[12:13], v[6:7], v[10:11]
	v_mul_f64 v[14:15], v[4:5], v[10:11]
	v_fma_f64 v[12:13], v[4:5], v[8:9], -v[12:13]
	v_fmac_f64_e32 v[14:15], v[6:7], v[8:9]
	global_load_dwordx4 v[8:11], v[0:1], off offset:2016
	ds_read_b128 v[4:7], v3 offset:2016
	ds_write_b128 v3, v[12:15] offset:1344
	;; [unrolled: 8-line block ×10, first 2 shown]
	s_waitcnt vmcnt(0) lgkmcnt(1)
	v_mul_f64 v[12:13], v[6:7], v[10:11]
	v_mul_f64 v[14:15], v[4:5], v[10:11]
	v_fma_f64 v[12:13], v[4:5], v[8:9], -v[12:13]
	v_fmac_f64_e32 v[14:15], v[6:7], v[8:9]
	v_add_co_u32_e64 v8, s[2:3], s2, v252
	v_addc_co_u32_e64 v9, s[2:3], 0, v224, s[2:3]
	global_load_dwordx4 v[8:11], v[8:9], off offset:416
	ds_read_b128 v[4:7], v3 offset:8064
	ds_write_b128 v3, v[12:15] offset:7392
	s_waitcnt vmcnt(0) lgkmcnt(1)
	v_mul_f64 v[12:13], v[6:7], v[10:11]
	v_mul_f64 v[14:15], v[4:5], v[10:11]
	v_fma_f64 v[12:13], v[4:5], v[8:9], -v[12:13]
	v_fmac_f64_e32 v[14:15], v[6:7], v[8:9]
	ds_write_b128 v3, v[12:15] offset:8064
	s_and_saveexec_b64 s[4:5], vcc
	s_cbranch_execz .LBB0_13
; %bb.12:
	global_load_dwordx4 v[8:11], v[0:1], off offset:624
	ds_read_b128 v[4:7], v26 offset:624
	v_add_co_u32_e64 v16, s[2:3], s12, v0
	v_addc_co_u32_e64 v17, s[2:3], 0, v1, s[2:3]
	s_waitcnt vmcnt(0) lgkmcnt(0)
	v_mul_f64 v[12:13], v[6:7], v[10:11]
	v_mul_f64 v[14:15], v[4:5], v[10:11]
	v_fma_f64 v[12:13], v[4:5], v[8:9], -v[12:13]
	v_fmac_f64_e32 v[14:15], v[6:7], v[8:9]
	global_load_dwordx4 v[8:11], v[0:1], off offset:1296
	ds_read_b128 v[4:7], v26 offset:1296
	ds_write_b128 v26, v[12:15] offset:624
	s_waitcnt vmcnt(0) lgkmcnt(1)
	v_mul_f64 v[12:13], v[6:7], v[10:11]
	v_mul_f64 v[14:15], v[4:5], v[10:11]
	v_fma_f64 v[12:13], v[4:5], v[8:9], -v[12:13]
	v_fmac_f64_e32 v[14:15], v[6:7], v[8:9]
	global_load_dwordx4 v[8:11], v[0:1], off offset:1968
	ds_read_b128 v[4:7], v26 offset:1968
	ds_write_b128 v26, v[12:15] offset:1296
	;; [unrolled: 8-line block ×5, first 2 shown]
	v_add_co_u32_e64 v0, s[2:3], s13, v0
	v_addc_co_u32_e64 v1, s[2:3], 0, v1, s[2:3]
	s_waitcnt vmcnt(0) lgkmcnt(1)
	v_mul_f64 v[12:13], v[6:7], v[10:11]
	v_mul_f64 v[14:15], v[4:5], v[10:11]
	v_fma_f64 v[12:13], v[4:5], v[8:9], -v[12:13]
	v_fmac_f64_e32 v[14:15], v[6:7], v[8:9]
	global_load_dwordx4 v[8:11], v[16:17], off offset:560
	ds_read_b128 v[4:7], v26 offset:4656
	ds_write_b128 v26, v[12:15] offset:3984
	s_waitcnt vmcnt(0) lgkmcnt(1)
	v_mul_f64 v[12:13], v[6:7], v[10:11]
	v_mul_f64 v[14:15], v[4:5], v[10:11]
	v_fma_f64 v[12:13], v[4:5], v[8:9], -v[12:13]
	v_fmac_f64_e32 v[14:15], v[6:7], v[8:9]
	global_load_dwordx4 v[8:11], v[16:17], off offset:1232
	ds_read_b128 v[4:7], v26 offset:5328
	ds_write_b128 v26, v[12:15] offset:4656
	;; [unrolled: 8-line block ×7, first 2 shown]
	s_waitcnt vmcnt(0) lgkmcnt(1)
	v_mul_f64 v[0:1], v[6:7], v[10:11]
	v_mul_f64 v[14:15], v[4:5], v[10:11]
	v_fma_f64 v[12:13], v[4:5], v[8:9], -v[0:1]
	v_fmac_f64_e32 v[14:15], v[6:7], v[8:9]
	ds_write_b128 v26, v[12:15] offset:8688
.LBB0_13:
	s_or_b64 exec, exec, s[4:5]
	s_waitcnt lgkmcnt(0)
	s_barrier
	ds_read_b128 v[236:239], v3
	ds_read_b128 v[244:247], v3 offset:672
	ds_read_b128 v[232:235], v3 offset:1344
	;; [unrolled: 1-line block ×12, first 2 shown]
	s_and_saveexec_b64 s[2:3], vcc
	s_cbranch_execz .LBB0_15
; %bb.14:
	ds_read_b128 v[192:195], v26 offset:624
	ds_read_b128 v[188:191], v26 offset:1296
	;; [unrolled: 1-line block ×13, first 2 shown]
.LBB0_15:
	s_or_b64 exec, exec, s[2:3]
	s_waitcnt lgkmcnt(11)
	v_add_f64 v[0:1], v[236:237], v[244:245]
	v_add_f64 v[4:5], v[238:239], v[246:247]
	s_waitcnt lgkmcnt(10)
	v_add_f64 v[0:1], v[0:1], v[232:233]
	v_add_f64 v[4:5], v[4:5], v[234:235]
	;; [unrolled: 3-line block ×10, first 2 shown]
	s_mov_b32 s14, 0x42a4c3d2
	s_mov_b32 s30, 0x66966769
	;; [unrolled: 1-line block ×5, first 2 shown]
	s_waitcnt lgkmcnt(1)
	v_add_f64 v[0:1], v[0:1], v[240:241]
	v_add_f64 v[4:5], v[4:5], v[242:243]
	s_waitcnt lgkmcnt(0)
	v_add_f64 v[8:9], v[246:247], -v[250:251]
	s_mov_b32 s2, 0xe00740e9
	s_mov_b32 s15, 0xbfea55e2
	;; [unrolled: 1-line block ×11, first 2 shown]
	v_add_f64 v[220:221], v[0:1], v[248:249]
	v_add_f64 v[222:223], v[4:5], v[250:251]
	v_add_f64 v[0:1], v[244:245], v[248:249]
	v_add_f64 v[4:5], v[246:247], v[250:251]
	v_mul_f64 v[10:11], v[8:9], s[44:45]
	s_mov_b32 s3, 0x3fec55a7
	v_mul_f64 v[18:19], v[8:9], s[14:15]
	s_mov_b32 s5, 0x3fe22d96
	;; [unrolled: 2-line block ×6, first 2 shown]
	v_add_f64 v[6:7], v[244:245], -v[248:249]
	v_fma_f64 v[12:13], s[2:3], v[0:1], v[10:11]
	v_mul_f64 v[14:15], v[4:5], s[2:3]
	s_mov_b32 s13, 0x3fddbe06
	s_mov_b32 s12, s44
	v_fma_f64 v[10:11], v[0:1], s[2:3], -v[10:11]
	v_fma_f64 v[20:21], s[4:5], v[0:1], v[18:19]
	v_mul_f64 v[22:23], v[4:5], s[4:5]
	s_mov_b32 s41, 0x3fea55e2
	s_mov_b32 s40, s14
	v_fma_f64 v[18:19], v[0:1], s[4:5], -v[18:19]
	;; [unrolled: 5-line block ×6, first 2 shown]
	v_add_f64 v[8:9], v[234:235], v[242:243]
	v_add_f64 v[234:235], v[234:235], -v[242:243]
	v_add_f64 v[12:13], v[236:237], v[12:13]
	v_fma_f64 v[16:17], s[12:13], v[6:7], v[14:15]
	v_add_f64 v[10:11], v[236:237], v[10:11]
	v_fmac_f64_e32 v[14:15], s[44:45], v[6:7]
	v_add_f64 v[20:21], v[236:237], v[20:21]
	v_fma_f64 v[24:25], s[40:41], v[6:7], v[22:23]
	v_add_f64 v[18:19], v[236:237], v[18:19]
	v_fmac_f64_e32 v[22:23], s[14:15], v[6:7]
	;; [unrolled: 4-line block ×6, first 2 shown]
	v_add_f64 v[6:7], v[232:233], v[240:241]
	v_mul_f64 v[236:237], v[234:235], s[14:15]
	v_add_f64 v[16:17], v[238:239], v[16:17]
	v_add_f64 v[14:15], v[238:239], v[14:15]
	;; [unrolled: 1-line block ×12, first 2 shown]
	v_fma_f64 v[238:239], s[4:5], v[6:7], v[236:237]
	v_add_f64 v[232:233], v[232:233], -v[240:241]
	v_add_f64 v[12:13], v[238:239], v[12:13]
	v_mul_f64 v[238:239], v[8:9], s[4:5]
	v_fma_f64 v[236:237], v[6:7], s[4:5], -v[236:237]
	v_fma_f64 v[240:241], s[40:41], v[232:233], v[238:239]
	v_add_f64 v[10:11], v[236:237], v[10:11]
	v_fmac_f64_e32 v[238:239], s[14:15], v[232:233]
	v_mul_f64 v[236:237], v[234:235], s[24:25]
	v_add_f64 v[14:15], v[238:239], v[14:15]
	v_fma_f64 v[238:239], s[18:19], v[6:7], v[236:237]
	v_add_f64 v[20:21], v[238:239], v[20:21]
	v_mul_f64 v[238:239], v[8:9], s[18:19]
	v_fma_f64 v[236:237], v[6:7], s[18:19], -v[236:237]
	v_add_f64 v[16:17], v[240:241], v[16:17]
	v_fma_f64 v[240:241], s[36:37], v[232:233], v[238:239]
	v_add_f64 v[18:19], v[236:237], v[18:19]
	v_fmac_f64_e32 v[238:239], s[24:25], v[232:233]
	v_mul_f64 v[236:237], v[234:235], s[34:35]
	v_add_f64 v[22:23], v[238:239], v[22:23]
	v_fma_f64 v[238:239], s[26:27], v[6:7], v[236:237]
	v_add_f64 v[30:31], v[238:239], v[30:31]
	v_mul_f64 v[238:239], v[8:9], s[26:27]
	v_fma_f64 v[236:237], v[6:7], s[26:27], -v[236:237]
	v_add_f64 v[24:25], v[240:241], v[24:25]
	v_fma_f64 v[240:241], s[42:43], v[232:233], v[238:239]
	v_add_f64 v[28:29], v[236:237], v[28:29]
	v_fmac_f64_e32 v[238:239], s[34:35], v[232:233]
	v_mul_f64 v[236:237], v[234:235], s[28:29]
	v_add_f64 v[32:33], v[238:239], v[32:33]
	v_fma_f64 v[238:239], s[22:23], v[6:7], v[236:237]
	v_add_f64 v[38:39], v[238:239], v[38:39]
	v_mul_f64 v[238:239], v[8:9], s[22:23]
	v_fma_f64 v[236:237], v[6:7], s[22:23], -v[236:237]
	v_add_f64 v[34:35], v[240:241], v[34:35]
	v_fma_f64 v[240:241], s[38:39], v[232:233], v[238:239]
	v_add_f64 v[36:37], v[236:237], v[36:37]
	v_fmac_f64_e32 v[238:239], s[28:29], v[232:233]
	v_mul_f64 v[236:237], v[234:235], s[20:21]
	v_add_f64 v[40:41], v[238:239], v[40:41]
	v_fma_f64 v[238:239], s[16:17], v[6:7], v[236:237]
	v_add_f64 v[46:47], v[238:239], v[46:47]
	v_mul_f64 v[238:239], v[8:9], s[16:17]
	v_add_f64 v[42:43], v[240:241], v[42:43]
	v_fma_f64 v[240:241], s[30:31], v[232:233], v[238:239]
	v_fmac_f64_e32 v[238:239], s[20:21], v[232:233]
	v_mul_f64 v[8:9], v[8:9], s[2:3]
	v_fma_f64 v[236:237], v[6:7], s[16:17], -v[236:237]
	v_add_f64 v[48:49], v[238:239], v[48:49]
	v_mul_f64 v[234:235], v[234:235], s[12:13]
	v_fma_f64 v[238:239], s[44:45], v[232:233], v[8:9]
	v_fmac_f64_e32 v[8:9], s[12:13], v[232:233]
	v_add_f64 v[44:45], v[236:237], v[44:45]
	v_fma_f64 v[236:237], s[2:3], v[6:7], v[234:235]
	v_fma_f64 v[6:7], v[6:7], s[2:3], -v[234:235]
	v_add_f64 v[4:5], v[8:9], v[4:5]
	v_add_f64 v[8:9], v[226:227], v[230:231]
	v_add_f64 v[226:227], v[226:227], -v[230:231]
	v_add_f64 v[0:1], v[6:7], v[0:1]
	v_add_f64 v[6:7], v[224:225], v[228:229]
	v_add_f64 v[224:225], v[224:225], -v[228:229]
	v_mul_f64 v[228:229], v[226:227], s[30:31]
	v_fma_f64 v[230:231], s[16:17], v[6:7], v[228:229]
	v_add_f64 v[12:13], v[230:231], v[12:13]
	v_mul_f64 v[230:231], v[8:9], s[16:17]
	v_fma_f64 v[228:229], v[6:7], s[16:17], -v[228:229]
	v_fma_f64 v[232:233], s[20:21], v[224:225], v[230:231]
	v_add_f64 v[10:11], v[228:229], v[10:11]
	v_fmac_f64_e32 v[230:231], s[30:31], v[224:225]
	v_mul_f64 v[228:229], v[226:227], s[34:35]
	v_add_f64 v[14:15], v[230:231], v[14:15]
	v_fma_f64 v[230:231], s[26:27], v[6:7], v[228:229]
	v_add_f64 v[20:21], v[230:231], v[20:21]
	v_mul_f64 v[230:231], v[8:9], s[26:27]
	v_fma_f64 v[228:229], v[6:7], s[26:27], -v[228:229]
	v_add_f64 v[16:17], v[232:233], v[16:17]
	v_fma_f64 v[232:233], s[42:43], v[224:225], v[230:231]
	v_add_f64 v[18:19], v[228:229], v[18:19]
	v_fmac_f64_e32 v[230:231], s[34:35], v[224:225]
	v_mul_f64 v[228:229], v[226:227], s[36:37]
	v_add_f64 v[22:23], v[230:231], v[22:23]
	v_fma_f64 v[230:231], s[18:19], v[6:7], v[228:229]
	v_add_f64 v[30:31], v[230:231], v[30:31]
	v_mul_f64 v[230:231], v[8:9], s[18:19]
	v_fma_f64 v[228:229], v[6:7], s[18:19], -v[228:229]
	v_add_f64 v[24:25], v[232:233], v[24:25]
	v_fma_f64 v[232:233], s[24:25], v[224:225], v[230:231]
	v_add_f64 v[28:29], v[228:229], v[28:29]
	v_fmac_f64_e32 v[230:231], s[36:37], v[224:225]
	v_mul_f64 v[228:229], v[226:227], s[12:13]
	v_add_f64 v[32:33], v[230:231], v[32:33]
	v_fma_f64 v[230:231], s[2:3], v[6:7], v[228:229]
	v_add_f64 v[38:39], v[230:231], v[38:39]
	v_mul_f64 v[230:231], v[8:9], s[2:3]
	v_fma_f64 v[228:229], v[6:7], s[2:3], -v[228:229]
	v_add_f64 v[34:35], v[232:233], v[34:35]
	v_fma_f64 v[232:233], s[44:45], v[224:225], v[230:231]
	v_add_f64 v[36:37], v[228:229], v[36:37]
	v_fmac_f64_e32 v[230:231], s[12:13], v[224:225]
	v_mul_f64 v[228:229], v[226:227], s[14:15]
	v_add_f64 v[40:41], v[230:231], v[40:41]
	v_fma_f64 v[230:231], s[4:5], v[6:7], v[228:229]
	v_add_f64 v[46:47], v[230:231], v[46:47]
	v_mul_f64 v[230:231], v[8:9], s[4:5]
	v_add_f64 v[42:43], v[232:233], v[42:43]
	v_fma_f64 v[232:233], s[40:41], v[224:225], v[230:231]
	v_fmac_f64_e32 v[230:231], s[14:15], v[224:225]
	v_mul_f64 v[8:9], v[8:9], s[22:23]
	v_fma_f64 v[228:229], v[6:7], s[4:5], -v[228:229]
	v_add_f64 v[48:49], v[230:231], v[48:49]
	v_mul_f64 v[226:227], v[226:227], s[38:39]
	v_fma_f64 v[230:231], s[28:29], v[224:225], v[8:9]
	v_fmac_f64_e32 v[8:9], s[38:39], v[224:225]
	v_add_f64 v[44:45], v[228:229], v[44:45]
	v_fma_f64 v[228:229], s[22:23], v[6:7], v[226:227]
	v_fma_f64 v[6:7], v[6:7], s[22:23], -v[226:227]
	v_add_f64 v[4:5], v[8:9], v[4:5]
	v_add_f64 v[8:9], v[214:215], v[218:219]
	v_add_f64 v[214:215], v[214:215], -v[218:219]
	v_add_f64 v[0:1], v[6:7], v[0:1]
	v_add_f64 v[6:7], v[212:213], v[216:217]
	v_add_f64 v[212:213], v[212:213], -v[216:217]
	v_mul_f64 v[216:217], v[214:215], s[24:25]
	v_fma_f64 v[218:219], s[18:19], v[6:7], v[216:217]
	;; [unrolled: 61-line block ×3, first 2 shown]
	v_add_f64 v[12:13], v[210:211], v[12:13]
	v_mul_f64 v[210:211], v[8:9], s[22:23]
	v_fma_f64 v[208:209], v[6:7], s[22:23], -v[208:209]
	v_fma_f64 v[212:213], s[28:29], v[204:205], v[210:211]
	v_add_f64 v[10:11], v[208:209], v[10:11]
	v_fmac_f64_e32 v[210:211], s[38:39], v[204:205]
	v_mul_f64 v[208:209], v[206:207], s[20:21]
	v_add_f64 v[14:15], v[210:211], v[14:15]
	v_fma_f64 v[210:211], s[16:17], v[6:7], v[208:209]
	v_add_f64 v[20:21], v[210:211], v[20:21]
	v_mul_f64 v[210:211], v[8:9], s[16:17]
	v_fma_f64 v[208:209], v[6:7], s[16:17], -v[208:209]
	v_add_f64 v[16:17], v[212:213], v[16:17]
	v_fma_f64 v[212:213], s[30:31], v[204:205], v[210:211]
	v_add_f64 v[18:19], v[208:209], v[18:19]
	v_fmac_f64_e32 v[210:211], s[20:21], v[204:205]
	v_mul_f64 v[208:209], v[206:207], s[14:15]
	v_add_f64 v[22:23], v[210:211], v[22:23]
	v_fma_f64 v[210:211], s[4:5], v[6:7], v[208:209]
	v_add_f64 v[30:31], v[210:211], v[30:31]
	v_mul_f64 v[210:211], v[8:9], s[4:5]
	v_fma_f64 v[208:209], v[6:7], s[4:5], -v[208:209]
	v_add_f64 v[24:25], v[212:213], v[24:25]
	;; [unrolled: 10-line block ×3, first 2 shown]
	v_fma_f64 v[212:213], s[34:35], v[204:205], v[210:211]
	v_add_f64 v[36:37], v[208:209], v[36:37]
	v_fmac_f64_e32 v[210:211], s[42:43], v[204:205]
	v_mul_f64 v[208:209], v[206:207], s[12:13]
	v_add_f64 v[40:41], v[210:211], v[40:41]
	v_fma_f64 v[210:211], s[2:3], v[6:7], v[208:209]
	v_add_f64 v[46:47], v[210:211], v[46:47]
	v_mul_f64 v[210:211], v[8:9], s[2:3]
	v_fma_f64 v[208:209], v[6:7], s[2:3], -v[208:209]
	v_mul_f64 v[206:207], v[206:207], s[24:25]
	v_add_f64 v[42:43], v[212:213], v[42:43]
	v_fma_f64 v[212:213], s[44:45], v[204:205], v[210:211]
	v_add_f64 v[44:45], v[208:209], v[44:45]
	v_fmac_f64_e32 v[210:211], s[12:13], v[204:205]
	v_fma_f64 v[208:209], s[18:19], v[6:7], v[206:207]
	v_mul_f64 v[8:9], v[8:9], s[18:19]
	v_fma_f64 v[6:7], v[6:7], s[18:19], -v[206:207]
	v_add_f64 v[206:207], v[198:199], v[202:203]
	v_add_f64 v[202:203], v[198:199], -v[202:203]
	v_add_f64 v[48:49], v[210:211], v[48:49]
	v_fma_f64 v[210:211], s[36:37], v[204:205], v[8:9]
	v_fmac_f64_e32 v[8:9], s[24:25], v[204:205]
	v_add_f64 v[204:205], v[196:197], v[200:201]
	v_add_f64 v[200:201], v[196:197], -v[200:201]
	v_mul_f64 v[196:197], v[202:203], s[34:35]
	v_add_f64 v[8:9], v[8:9], v[4:5]
	v_fma_f64 v[4:5], s[26:27], v[204:205], v[196:197]
	v_add_f64 v[4:5], v[4:5], v[12:13]
	v_mul_f64 v[12:13], v[206:207], s[26:27]
	v_add_f64 v[0:1], v[6:7], v[0:1]
	v_fma_f64 v[6:7], s[42:43], v[200:201], v[12:13]
	v_add_f64 v[6:7], v[6:7], v[16:17]
	v_fma_f64 v[16:17], v[204:205], s[26:27], -v[196:197]
	v_add_f64 v[196:197], v[16:17], v[10:11]
	v_fmac_f64_e32 v[12:13], s[34:35], v[200:201]
	v_mul_f64 v[16:17], v[206:207], s[2:3]
	v_add_f64 v[198:199], v[12:13], v[14:15]
	v_mul_f64 v[14:15], v[202:203], s[12:13]
	v_fma_f64 v[12:13], s[44:45], v[200:201], v[16:17]
	v_fma_f64 v[10:11], s[2:3], v[204:205], v[14:15]
	v_add_f64 v[12:13], v[12:13], v[24:25]
	v_fmac_f64_e32 v[16:17], s[12:13], v[200:201]
	v_mul_f64 v[24:25], v[206:207], s[22:23]
	v_add_f64 v[10:11], v[10:11], v[20:21]
	v_fma_f64 v[14:15], v[204:205], s[2:3], -v[14:15]
	v_add_f64 v[16:17], v[16:17], v[22:23]
	v_mul_f64 v[22:23], v[202:203], s[38:39]
	v_fma_f64 v[20:21], s[28:29], v[200:201], v[24:25]
	v_add_f64 v[14:15], v[14:15], v[18:19]
	v_fma_f64 v[18:19], s[22:23], v[204:205], v[22:23]
	v_add_f64 v[20:21], v[20:21], v[34:35]
	v_fmac_f64_e32 v[24:25], s[38:39], v[200:201]
	v_mul_f64 v[34:35], v[206:207], s[4:5]
	v_add_f64 v[50:51], v[240:241], v[50:51]
	v_add_f64 v[18:19], v[18:19], v[30:31]
	v_fma_f64 v[22:23], v[204:205], s[22:23], -v[22:23]
	v_add_f64 v[24:25], v[24:25], v[32:33]
	v_mul_f64 v[32:33], v[202:203], s[40:41]
	v_fma_f64 v[30:31], s[14:15], v[200:201], v[34:35]
	v_add_f64 v[50:51], v[232:233], v[50:51]
	v_add_f64 v[22:23], v[22:23], v[28:29]
	v_fma_f64 v[28:29], s[4:5], v[204:205], v[32:33]
	v_add_f64 v[30:31], v[30:31], v[42:43]
	v_fmac_f64_e32 v[34:35], s[40:41], v[200:201]
	v_mul_f64 v[42:43], v[206:207], s[18:19]
	v_add_f64 v[50:51], v[224:225], v[50:51]
	v_add_f64 v[28:29], v[28:29], v[38:39]
	v_fma_f64 v[32:33], v[204:205], s[4:5], -v[32:33]
	v_add_f64 v[34:35], v[34:35], v[40:41]
	v_mul_f64 v[40:41], v[202:203], s[24:25]
	v_fma_f64 v[38:39], s[36:37], v[200:201], v[42:43]
	v_fmac_f64_e32 v[42:43], s[24:25], v[200:201]
	v_add_f64 v[50:51], v[212:213], v[50:51]
	v_add_f64 v[32:33], v[32:33], v[36:37]
	v_fma_f64 v[36:37], s[18:19], v[204:205], v[40:41]
	v_fma_f64 v[40:41], v[204:205], s[18:19], -v[40:41]
	v_add_f64 v[42:43], v[42:43], v[48:49]
	v_mul_f64 v[48:49], v[202:203], s[20:21]
	v_add_f64 v[38:39], v[38:39], v[50:51]
	v_add_f64 v[40:41], v[40:41], v[44:45]
	v_fma_f64 v[44:45], s[16:17], v[204:205], v[48:49]
	v_mul_f64 v[50:51], v[206:207], s[16:17]
	v_fma_f64 v[48:49], v[204:205], s[16:17], -v[48:49]
	v_add_f64 v[36:37], v[36:37], v[46:47]
	v_fma_f64 v[46:47], s[30:31], v[200:201], v[50:51]
	v_add_f64 v[48:49], v[48:49], v[0:1]
	v_fmac_f64_e32 v[50:51], s[20:21], v[200:201]
	v_add_f64 v[0:1], v[192:193], v[188:189]
	v_add_f64 v[50:51], v[50:51], v[8:9]
	;; [unrolled: 1-line block ×25, first 2 shown]
	v_add_f64 v[228:229], v[188:189], -v[168:169]
	v_add_f64 v[8:9], v[8:9], v[162:163]
	v_add_f64 v[200:201], v[0:1], v[168:169]
	;; [unrolled: 1-line block ×4, first 2 shown]
	v_add_f64 v[212:213], v[190:191], -v[170:171]
	v_mul_f64 v[168:169], v[228:229], s[44:45]
	v_add_f64 v[202:203], v[8:9], v[170:171]
	v_mul_f64 v[0:1], v[212:213], s[44:45]
	v_fma_f64 v[170:171], v[206:207], s[2:3], -v[168:169]
	v_add_f64 v[224:225], v[118:119], -v[162:163]
	v_fma_f64 v[8:9], s[2:3], v[204:205], v[0:1]
	v_add_f64 v[188:189], v[194:195], v[170:171]
	v_add_f64 v[170:171], v[116:117], v[160:161]
	v_add_f64 v[236:237], v[116:117], -v[160:161]
	v_mul_f64 v[160:161], v[224:225], s[14:15]
	v_add_f64 v[8:9], v[192:193], v[8:9]
	v_add_f64 v[190:191], v[118:119], v[162:163]
	v_fma_f64 v[116:117], s[4:5], v[170:171], v[160:161]
	v_mul_f64 v[162:163], v[236:237], s[14:15]
	v_add_f64 v[8:9], v[116:117], v[8:9]
	v_fma_f64 v[116:117], v[190:191], s[4:5], -v[162:163]
	v_add_f64 v[232:233], v[122:123], -v[158:159]
	v_add_f64 v[238:239], v[238:239], v[246:247]
	v_add_f64 v[116:117], v[116:117], v[188:189]
	;; [unrolled: 1-line block ×3, first 2 shown]
	v_add_f64 v[242:243], v[120:121], -v[156:157]
	v_mul_f64 v[156:157], v[232:233], s[30:31]
	v_add_f64 v[230:231], v[230:231], v[238:239]
	v_add_f64 v[208:209], v[208:209], v[216:217]
	;; [unrolled: 1-line block ×3, first 2 shown]
	v_fma_f64 v[118:119], s[16:17], v[188:189], v[156:157]
	v_mul_f64 v[158:159], v[242:243], s[30:31]
	v_add_f64 v[238:239], v[126:127], -v[150:151]
	v_add_f64 v[44:45], v[44:45], v[208:209]
	v_add_f64 v[8:9], v[118:119], v[8:9]
	v_fma_f64 v[118:119], v[214:215], s[16:17], -v[158:159]
	v_add_f64 v[208:209], v[124:125], v[148:149]
	v_add_f64 v[246:247], v[124:125], -v[148:149]
	v_mul_f64 v[148:149], v[238:239], s[24:25]
	v_add_f64 v[218:219], v[218:219], v[230:231]
	v_add_f64 v[116:117], v[118:119], v[116:117]
	;; [unrolled: 1-line block ×3, first 2 shown]
	v_fma_f64 v[118:119], s[18:19], v[208:209], v[148:149]
	v_mul_f64 v[150:151], v[246:247], s[24:25]
	v_add_f64 v[244:245], v[130:131], -v[146:147]
	v_add_f64 v[210:211], v[210:211], v[218:219]
	v_add_f64 v[8:9], v[118:119], v[8:9]
	v_fma_f64 v[118:119], v[226:227], s[18:19], -v[150:151]
	v_add_f64 v[216:217], v[128:129], v[144:145]
	v_add_f64 v[250:251], v[128:129], -v[144:145]
	v_mul_f64 v[144:145], v[244:245], s[38:39]
	v_add_f64 v[46:47], v[46:47], v[210:211]
	v_add_f64 v[116:117], v[118:119], v[116:117]
	;; [unrolled: 1-line block ×3, first 2 shown]
	v_fma_f64 v[118:119], s[22:23], v[216:217], v[144:145]
	v_mul_f64 v[210:211], v[250:251], s[38:39]
	v_add_f64 v[118:119], v[118:119], v[8:9]
	v_fma_f64 v[8:9], v[234:235], s[22:23], -v[210:211]
	v_add_f64 v[248:249], v[134:135], -v[138:139]
	v_add_f64 v[120:121], v[8:9], v[116:117]
	v_add_f64 v[230:231], v[132:133], v[136:137]
	v_add_f64 v[8:9], v[132:133], -v[136:137]
	v_mul_f64 v[146:147], v[248:249], s[34:35]
	v_add_f64 v[240:241], v[134:135], v[138:139]
	v_fma_f64 v[116:117], s[26:27], v[230:231], v[146:147]
	v_mul_f64 v[218:219], v[8:9], s[34:35]
	v_add_f64 v[116:117], v[116:117], v[118:119]
	v_fma_f64 v[118:119], v[240:241], s[26:27], -v[218:219]
	v_add_f64 v[118:119], v[118:119], v[120:121]
	s_barrier
	ds_write_b128 v255, v[220:223]
	ds_write_b128 v255, v[4:7] offset:16
	ds_write_b128 v255, v[10:13] offset:32
	ds_write_b128 v255, v[18:21] offset:48
	ds_write_b128 v255, v[28:31] offset:64
	ds_write_b128 v255, v[36:39] offset:80
	ds_write_b128 v255, v[44:47] offset:96
	ds_write_b128 v255, v[48:51] offset:112
	ds_write_b128 v255, v[40:43] offset:128
	ds_write_b128 v255, v[32:35] offset:144
	ds_write_b128 v255, v[22:25] offset:160
	ds_write_b128 v255, v[14:17] offset:176
	ds_write_b128 v255, v[196:199] offset:192
	s_and_saveexec_b64 s[44:45], vcc
	s_cbranch_execz .LBB0_17
; %bb.16:
	v_mul_f64 v[48:49], v[228:229], s[34:35]
	v_mul_f64 v[44:45], v[236:237], s[12:13]
	v_fma_f64 v[50:51], s[26:27], v[206:207], v[48:49]
	v_mul_f64 v[40:41], v[242:243], s[38:39]
	v_fma_f64 v[46:47], s[2:3], v[190:191], v[44:45]
	v_add_f64 v[50:51], v[194:195], v[50:51]
	v_mul_f64 v[130:131], v[212:213], s[34:35]
	v_mul_f64 v[36:37], v[246:247], s[40:41]
	v_fma_f64 v[42:43], s[22:23], v[214:215], v[40:41]
	v_add_f64 v[46:47], v[46:47], v[50:51]
	v_mul_f64 v[128:129], v[224:225], s[12:13]
	v_fma_f64 v[132:133], v[204:205], s[26:27], -v[130:131]
	v_mul_f64 v[32:33], v[250:251], s[24:25]
	v_fma_f64 v[38:39], s[4:5], v[226:227], v[36:37]
	v_add_f64 v[42:43], v[42:43], v[46:47]
	v_mul_f64 v[124:125], v[232:233], s[38:39]
	v_fma_f64 v[126:127], v[170:171], s[2:3], -v[128:129]
	v_add_f64 v[132:133], v[192:193], v[132:133]
	v_mul_f64 v[28:29], v[8:9], s[20:21]
	v_fma_f64 v[34:35], s[18:19], v[234:235], v[32:33]
	v_add_f64 v[38:39], v[38:39], v[42:43]
	v_mul_f64 v[46:47], v[238:239], s[40:41]
	v_fma_f64 v[120:121], v[188:189], s[22:23], -v[124:125]
	v_add_f64 v[126:127], v[126:127], v[132:133]
	v_fma_f64 v[30:31], s[16:17], v[240:241], v[28:29]
	v_add_f64 v[34:35], v[34:35], v[38:39]
	v_mul_f64 v[38:39], v[244:245], s[24:25]
	v_fma_f64 v[50:51], v[208:209], s[4:5], -v[46:47]
	v_add_f64 v[120:121], v[120:121], v[126:127]
	v_add_f64 v[122:123], v[30:31], v[34:35]
	v_mul_f64 v[30:31], v[248:249], s[20:21]
	v_fma_f64 v[42:43], v[216:217], s[18:19], -v[38:39]
	v_add_f64 v[50:51], v[50:51], v[120:121]
	v_fma_f64 v[34:35], v[230:231], s[16:17], -v[30:31]
	v_add_f64 v[42:43], v[42:43], v[50:51]
	v_add_f64 v[120:121], v[34:35], v[42:43]
	v_fma_f64 v[42:43], v[206:207], s[26:27], -v[48:49]
	v_fma_f64 v[34:35], v[226:227], s[4:5], -v[36:37]
	;; [unrolled: 1-line block ×4, first 2 shown]
	v_add_f64 v[42:43], v[194:195], v[42:43]
	v_add_f64 v[40:41], v[40:41], v[42:43]
	;; [unrolled: 1-line block ×3, first 2 shown]
	v_fma_f64 v[32:33], v[234:235], s[18:19], -v[32:33]
	v_add_f64 v[34:35], v[34:35], v[36:37]
	v_fma_f64 v[28:29], v[240:241], s[16:17], -v[28:29]
	v_add_f64 v[32:33], v[32:33], v[34:35]
	v_fmac_f64_e32 v[130:131], s[26:27], v[204:205]
	v_add_f64 v[126:127], v[28:29], v[32:33]
	v_fmac_f64_e32 v[128:129], s[2:3], v[170:171]
	;; [unrolled: 2-line block ×3, first 2 shown]
	v_add_f64 v[28:29], v[128:129], v[28:29]
	v_mul_f64 v[48:49], v[228:229], s[38:39]
	v_fmac_f64_e32 v[46:47], s[4:5], v[208:209]
	v_add_f64 v[28:29], v[124:125], v[28:29]
	v_mul_f64 v[44:45], v[236:237], s[20:21]
	v_fma_f64 v[50:51], s[22:23], v[206:207], v[48:49]
	v_add_f64 v[28:29], v[46:47], v[28:29]
	v_mul_f64 v[40:41], v[242:243], s[14:15]
	v_fma_f64 v[46:47], s[16:17], v[190:191], v[44:45]
	v_add_f64 v[50:51], v[194:195], v[50:51]
	v_mul_f64 v[138:139], v[212:213], s[38:39]
	v_fmac_f64_e32 v[38:39], s[18:19], v[216:217]
	v_mul_f64 v[36:37], v[246:247], s[42:43]
	v_fma_f64 v[42:43], s[4:5], v[214:215], v[40:41]
	v_add_f64 v[46:47], v[46:47], v[50:51]
	v_mul_f64 v[136:137], v[224:225], s[20:21]
	v_mov_b32_e32 v27, v254
	v_fma_f64 v[254:255], v[204:205], s[22:23], -v[138:139]
	v_fmac_f64_e32 v[30:31], s[16:17], v[230:231]
	v_add_f64 v[28:29], v[38:39], v[28:29]
	v_mul_f64 v[32:33], v[250:251], s[12:13]
	v_fma_f64 v[38:39], s[26:27], v[226:227], v[36:37]
	v_add_f64 v[42:43], v[42:43], v[46:47]
	v_mul_f64 v[132:133], v[232:233], s[14:15]
	v_fma_f64 v[134:135], v[170:171], s[16:17], -v[136:137]
	v_add_f64 v[254:255], v[192:193], v[254:255]
	v_add_f64 v[124:125], v[30:31], v[28:29]
	v_mul_f64 v[28:29], v[8:9], s[24:25]
	v_fma_f64 v[34:35], s[2:3], v[234:235], v[32:33]
	v_add_f64 v[38:39], v[38:39], v[42:43]
	v_mul_f64 v[46:47], v[238:239], s[42:43]
	v_fma_f64 v[128:129], v[188:189], s[4:5], -v[132:133]
	v_add_f64 v[134:135], v[134:135], v[254:255]
	v_fma_f64 v[30:31], s[18:19], v[240:241], v[28:29]
	v_add_f64 v[34:35], v[34:35], v[38:39]
	v_mul_f64 v[38:39], v[244:245], s[12:13]
	v_fma_f64 v[50:51], v[208:209], s[26:27], -v[46:47]
	v_add_f64 v[128:129], v[128:129], v[134:135]
	v_add_f64 v[130:131], v[30:31], v[34:35]
	v_mul_f64 v[30:31], v[248:249], s[24:25]
	v_fma_f64 v[42:43], v[216:217], s[2:3], -v[38:39]
	v_add_f64 v[50:51], v[50:51], v[128:129]
	v_fma_f64 v[34:35], v[230:231], s[18:19], -v[30:31]
	v_add_f64 v[42:43], v[42:43], v[50:51]
	v_add_f64 v[128:129], v[34:35], v[42:43]
	v_fma_f64 v[42:43], v[206:207], s[22:23], -v[48:49]
	v_fma_f64 v[34:35], v[226:227], s[26:27], -v[36:37]
	;; [unrolled: 1-line block ×4, first 2 shown]
	v_add_f64 v[42:43], v[194:195], v[42:43]
	v_add_f64 v[40:41], v[40:41], v[42:43]
	;; [unrolled: 1-line block ×3, first 2 shown]
	v_fma_f64 v[32:33], v[234:235], s[2:3], -v[32:33]
	v_add_f64 v[34:35], v[34:35], v[36:37]
	v_fma_f64 v[28:29], v[240:241], s[18:19], -v[28:29]
	v_add_f64 v[32:33], v[32:33], v[34:35]
	v_fmac_f64_e32 v[138:139], s[22:23], v[204:205]
	v_add_f64 v[134:135], v[28:29], v[32:33]
	v_fmac_f64_e32 v[136:137], s[16:17], v[170:171]
	;; [unrolled: 2-line block ×3, first 2 shown]
	v_add_f64 v[28:29], v[136:137], v[28:29]
	v_mul_f64 v[48:49], v[228:229], s[24:25]
	v_fmac_f64_e32 v[46:47], s[26:27], v[208:209]
	v_add_f64 v[28:29], v[132:133], v[28:29]
	v_mul_f64 v[44:45], v[236:237], s[28:29]
	v_fma_f64 v[50:51], s[18:19], v[206:207], v[48:49]
	v_add_f64 v[28:29], v[46:47], v[28:29]
	v_mul_f64 v[40:41], v[242:243], s[12:13]
	v_fma_f64 v[46:47], s[22:23], v[190:191], v[44:45]
	v_add_f64 v[50:51], v[194:195], v[50:51]
	v_accvgpr_write_b32 a75, v56
	v_mul_f64 v[56:57], v[212:213], s[24:25]
	v_fmac_f64_e32 v[38:39], s[2:3], v[216:217]
	v_mul_f64 v[36:37], v[246:247], s[30:31]
	v_fma_f64 v[42:43], s[2:3], v[214:215], v[40:41]
	v_add_f64 v[46:47], v[46:47], v[50:51]
	v_accvgpr_write_b32 a72, v53
	v_mul_f64 v[52:53], v[224:225], s[28:29]
	v_fma_f64 v[58:59], v[204:205], s[18:19], -v[56:57]
	v_fmac_f64_e32 v[30:31], s[18:19], v[230:231]
	v_add_f64 v[28:29], v[38:39], v[28:29]
	v_mul_f64 v[32:33], v[250:251], s[42:43]
	v_fma_f64 v[38:39], s[16:17], v[226:227], v[36:37]
	v_add_f64 v[42:43], v[42:43], v[46:47]
	v_mul_f64 v[254:255], v[232:233], s[12:13]
	v_accvgpr_write_b32 a73, v54
	v_accvgpr_write_b32 a74, v55
	v_fma_f64 v[54:55], v[170:171], s[22:23], -v[52:53]
	v_add_f64 v[58:59], v[192:193], v[58:59]
	v_add_f64 v[132:133], v[30:31], v[28:29]
	v_mul_f64 v[28:29], v[8:9], s[40:41]
	v_fma_f64 v[34:35], s[26:27], v[234:235], v[32:33]
	v_add_f64 v[38:39], v[38:39], v[42:43]
	v_mul_f64 v[46:47], v[238:239], s[30:31]
	v_fma_f64 v[136:137], v[188:189], s[2:3], -v[254:255]
	v_add_f64 v[54:55], v[54:55], v[58:59]
	v_fma_f64 v[30:31], s[4:5], v[240:241], v[28:29]
	v_add_f64 v[34:35], v[34:35], v[38:39]
	v_mul_f64 v[38:39], v[244:245], s[42:43]
	v_fma_f64 v[50:51], v[208:209], s[16:17], -v[46:47]
	v_add_f64 v[54:55], v[136:137], v[54:55]
	v_add_f64 v[138:139], v[30:31], v[34:35]
	v_mul_f64 v[34:35], v[248:249], s[40:41]
	v_fma_f64 v[42:43], v[216:217], s[26:27], -v[38:39]
	v_add_f64 v[50:51], v[50:51], v[54:55]
	v_fma_f64 v[30:31], v[230:231], s[4:5], -v[34:35]
	v_add_f64 v[42:43], v[42:43], v[50:51]
	v_add_f64 v[136:137], v[30:31], v[42:43]
	v_fma_f64 v[42:43], v[206:207], s[18:19], -v[48:49]
	v_fma_f64 v[30:31], v[234:235], s[26:27], -v[32:33]
	;; [unrolled: 1-line block ×5, first 2 shown]
	v_add_f64 v[42:43], v[194:195], v[42:43]
	v_add_f64 v[40:41], v[40:41], v[42:43]
	;; [unrolled: 1-line block ×4, first 2 shown]
	v_fma_f64 v[28:29], v[240:241], s[4:5], -v[28:29]
	v_add_f64 v[30:31], v[30:31], v[32:33]
	v_fmac_f64_e32 v[56:57], s[18:19], v[204:205]
	v_add_f64 v[30:31], v[28:29], v[30:31]
	v_fmac_f64_e32 v[52:53], s[22:23], v[170:171]
	v_add_f64 v[28:29], v[192:193], v[56:57]
	v_add_f64 v[28:29], v[52:53], v[28:29]
	v_mul_f64 v[52:53], v[228:229], s[30:31]
	v_accvgpr_write_b32 a54, v62
	v_fmac_f64_e32 v[254:255], s[2:3], v[188:189]
	v_mul_f64 v[48:49], v[236:237], s[34:35]
	v_fma_f64 v[54:55], s[16:17], v[206:207], v[52:53]
	v_accvgpr_write_b32 a55, v63
	v_accvgpr_write_b32 a56, v64
	;; [unrolled: 1-line block ×3, first 2 shown]
	v_mul_f64 v[64:65], v[212:213], s[30:31]
	v_fmac_f64_e32 v[46:47], s[16:17], v[208:209]
	v_add_f64 v[28:29], v[254:255], v[28:29]
	v_mul_f64 v[44:45], v[242:243], s[36:37]
	v_fma_f64 v[50:51], s[26:27], v[190:191], v[48:49]
	v_add_f64 v[54:55], v[194:195], v[54:55]
	v_accvgpr_write_b32 a1, v61
	v_mul_f64 v[60:61], v[224:225], s[34:35]
	v_accvgpr_write_b32 a63, v2
	v_mov_b32_e32 v2, v66
	v_fma_f64 v[66:67], v[204:205], s[16:17], -v[64:65]
	v_fmac_f64_e32 v[38:39], s[26:27], v[216:217]
	v_add_f64 v[28:29], v[46:47], v[28:29]
	v_mul_f64 v[40:41], v[246:247], s[12:13]
	v_fma_f64 v[46:47], s[18:19], v[214:215], v[44:45]
	v_add_f64 v[50:51], v[50:51], v[54:55]
	v_mul_f64 v[58:59], v[232:233], s[36:37]
	v_fma_f64 v[62:63], v[170:171], s[26:27], -v[60:61]
	v_add_f64 v[66:67], v[192:193], v[66:67]
	v_fmac_f64_e32 v[34:35], s[4:5], v[230:231]
	v_add_f64 v[28:29], v[38:39], v[28:29]
	v_mul_f64 v[38:39], v[250:251], s[14:15]
	v_fma_f64 v[42:43], s[2:3], v[226:227], v[40:41]
	v_add_f64 v[46:47], v[46:47], v[50:51]
	v_mul_f64 v[54:55], v[238:239], s[12:13]
	v_fma_f64 v[254:255], v[188:189], s[18:19], -v[58:59]
	v_add_f64 v[62:63], v[62:63], v[66:67]
	v_add_f64 v[28:29], v[34:35], v[28:29]
	v_mul_f64 v[36:37], v[8:9], s[38:39]
	v_fma_f64 v[34:35], s[4:5], v[234:235], v[38:39]
	v_add_f64 v[42:43], v[42:43], v[46:47]
	v_mul_f64 v[46:47], v[244:245], s[14:15]
	v_fma_f64 v[56:57], v[208:209], s[2:3], -v[54:55]
	v_add_f64 v[62:63], v[254:255], v[62:63]
	v_fma_f64 v[32:33], s[22:23], v[240:241], v[36:37]
	v_add_f64 v[34:35], v[34:35], v[42:43]
	v_mul_f64 v[42:43], v[248:249], s[38:39]
	v_fma_f64 v[50:51], v[216:217], s[4:5], -v[46:47]
	v_add_f64 v[56:57], v[56:57], v[62:63]
	v_add_f64 v[34:35], v[32:33], v[34:35]
	v_fma_f64 v[32:33], v[230:231], s[22:23], -v[42:43]
	v_add_f64 v[50:51], v[50:51], v[56:57]
	v_add_f64 v[32:33], v[32:33], v[50:51]
	v_fma_f64 v[50:51], v[206:207], s[16:17], -v[52:53]
	v_fma_f64 v[48:49], v[190:191], s[26:27], -v[48:49]
	v_add_f64 v[50:51], v[194:195], v[50:51]
	v_fma_f64 v[44:45], v[214:215], s[18:19], -v[44:45]
	v_add_f64 v[48:49], v[48:49], v[50:51]
	;; [unrolled: 2-line block ×5, first 2 shown]
	v_fmac_f64_e32 v[64:65], s[16:17], v[204:205]
	v_add_f64 v[38:39], v[36:37], v[38:39]
	v_fmac_f64_e32 v[60:61], s[26:27], v[170:171]
	v_add_f64 v[36:37], v[192:193], v[64:65]
	;; [unrolled: 2-line block ×4, first 2 shown]
	v_mul_f64 v[58:59], v[228:229], s[14:15]
	v_add_f64 v[36:37], v[54:55], v[36:37]
	v_mul_f64 v[54:55], v[236:237], s[24:25]
	v_fma_f64 v[60:61], s[4:5], v[206:207], v[58:59]
	v_mul_f64 v[212:213], v[212:213], s[14:15]
	v_fmac_f64_e32 v[46:47], s[4:5], v[216:217]
	v_mul_f64 v[50:51], v[242:243], s[34:35]
	v_fma_f64 v[56:57], s[18:19], v[190:191], v[54:55]
	v_add_f64 v[60:61], v[194:195], v[60:61]
	v_mul_f64 v[64:65], v[232:233], s[34:35]
	v_mul_f64 v[224:225], v[224:225], s[24:25]
	v_fma_f64 v[232:233], v[204:205], s[4:5], -v[212:213]
	v_add_f64 v[36:37], v[46:47], v[36:37]
	v_mul_f64 v[46:47], v[246:247], s[28:29]
	v_fma_f64 v[52:53], s[26:27], v[214:215], v[50:51]
	v_add_f64 v[56:57], v[56:57], v[60:61]
	v_fma_f64 v[228:229], v[170:171], s[18:19], -v[224:225]
	v_add_f64 v[232:233], v[192:193], v[232:233]
	v_fmac_f64_e32 v[42:43], s[22:23], v[230:231]
	v_mul_f64 v[44:45], v[250:251], s[20:21]
	v_fma_f64 v[48:49], s[22:23], v[226:227], v[46:47]
	v_add_f64 v[52:53], v[52:53], v[56:57]
	v_mul_f64 v[60:61], v[238:239], s[28:29]
	v_fma_f64 v[66:67], v[188:189], s[26:27], -v[64:65]
	v_add_f64 v[228:229], v[228:229], v[232:233]
	v_add_f64 v[36:37], v[42:43], v[36:37]
	v_mul_f64 v[8:9], v[8:9], s[12:13]
	v_fma_f64 v[42:43], s[16:17], v[234:235], v[44:45]
	v_add_f64 v[48:49], v[48:49], v[52:53]
	v_mul_f64 v[52:53], v[244:245], s[20:21]
	v_fma_f64 v[62:63], v[208:209], s[22:23], -v[60:61]
	v_add_f64 v[66:67], v[66:67], v[228:229]
	v_fma_f64 v[40:41], s[2:3], v[240:241], v[8:9]
	v_add_f64 v[42:43], v[42:43], v[48:49]
	v_mul_f64 v[48:49], v[248:249], s[12:13]
	v_fma_f64 v[56:57], v[216:217], s[16:17], -v[52:53]
	v_add_f64 v[62:63], v[62:63], v[66:67]
	v_add_f64 v[42:43], v[40:41], v[42:43]
	v_fma_f64 v[40:41], v[230:231], s[2:3], -v[48:49]
	v_add_f64 v[56:57], v[56:57], v[62:63]
	v_add_f64 v[40:41], v[40:41], v[56:57]
	v_fma_f64 v[56:57], v[206:207], s[4:5], -v[58:59]
	v_fma_f64 v[54:55], v[190:191], s[18:19], -v[54:55]
	v_add_f64 v[56:57], v[194:195], v[56:57]
	v_fma_f64 v[50:51], v[214:215], s[26:27], -v[50:51]
	v_add_f64 v[54:55], v[54:55], v[56:57]
	;; [unrolled: 2-line block ×4, first 2 shown]
	v_mul_f64 v[12:13], v[206:207], s[2:3]
	v_fma_f64 v[8:9], v[240:241], s[2:3], -v[8:9]
	v_add_f64 v[44:45], v[44:45], v[46:47]
	v_fmac_f64_e32 v[212:213], s[4:5], v[204:205]
	v_mul_f64 v[16:17], v[190:191], s[4:5]
	v_add_f64 v[46:47], v[8:9], v[44:45]
	v_fmac_f64_e32 v[224:225], s[18:19], v[170:171]
	v_add_f64 v[8:9], v[192:193], v[212:213]
	v_add_f64 v[12:13], v[168:169], v[12:13]
	v_mul_f64 v[18:19], v[214:215], s[16:17]
	v_fmac_f64_e32 v[64:65], s[26:27], v[188:189]
	v_add_f64 v[8:9], v[224:225], v[8:9]
	v_add_f64 v[16:17], v[162:163], v[16:17]
	v_add_f64 v[12:13], v[194:195], v[12:13]
	v_mul_f64 v[20:21], v[226:227], s[18:19]
	v_fmac_f64_e32 v[60:61], s[22:23], v[208:209]
	v_add_f64 v[8:9], v[64:65], v[8:9]
	;; [unrolled: 5-line block ×3, first 2 shown]
	v_add_f64 v[20:21], v[150:151], v[20:21]
	v_add_f64 v[12:13], v[18:19], v[12:13]
	v_mul_f64 v[220:221], v[204:205], s[2:3]
	v_mul_f64 v[24:25], v[240:241], s[26:27]
	v_fmac_f64_e32 v[48:49], s[2:3], v[230:231]
	v_add_f64 v[8:9], v[52:53], v[8:9]
	v_add_f64 v[22:23], v[210:211], v[22:23]
	;; [unrolled: 1-line block ×3, first 2 shown]
	v_mul_f64 v[222:223], v[170:171], s[4:5]
	v_mul_f64 v[14:15], v[230:231], s[26:27]
	v_add_f64 v[44:45], v[48:49], v[8:9]
	v_add_f64 v[8:9], v[218:219], v[24:25]
	v_add_f64 v[12:13], v[22:23], v[12:13]
	v_add_f64 v[0:1], v[220:221], -v[0:1]
	v_mul_f64 v[4:5], v[188:189], s[16:17]
	v_add_f64 v[8:9], v[8:9], v[12:13]
	v_add_f64 v[12:13], v[14:15], -v[146:147]
	v_add_f64 v[14:15], v[222:223], -v[160:161]
	v_add_f64 v[0:1], v[192:193], v[0:1]
	v_mul_f64 v[6:7], v[208:209], s[18:19]
	v_add_f64 v[4:5], v[4:5], -v[156:157]
	v_add_f64 v[0:1], v[14:15], v[0:1]
	v_mul_f64 v[10:11], v[216:217], s[22:23]
	v_add_f64 v[6:7], v[6:7], -v[148:149]
	v_add_f64 v[0:1], v[4:5], v[0:1]
	v_add_f64 v[10:11], v[10:11], -v[144:145]
	v_add_f64 v[0:1], v[6:7], v[0:1]
	v_mov_b32_e32 v254, v27
	v_accvgpr_read_b32 v65, a57
	v_add_f64 v[0:1], v[10:11], v[0:1]
	v_accvgpr_read_b32 v56, a75
	v_accvgpr_read_b32 v55, a74
	;; [unrolled: 1-line block ×8, first 2 shown]
	v_add_f64 v[6:7], v[12:13], v[0:1]
	v_lshl_add_u32 v0, v2, 4, v254
	v_accvgpr_read_b32 v2, a63
	ds_write_b128 v0, v[200:203]
	ds_write_b128 v0, v[116:119] offset:16
	ds_write_b128 v0, v[44:47] offset:32
	;; [unrolled: 1-line block ×12, first 2 shown]
.LBB0_17:
	s_or_b64 exec, exec, s[44:45]
	s_waitcnt lgkmcnt(0)
	s_barrier
	ds_read_b128 v[132:135], v3
	ds_read_b128 v[128:131], v3 offset:624
	ds_read_b128 v[192:195], v3 offset:2912
	;; [unrolled: 1-line block ×11, first 2 shown]
	s_and_saveexec_b64 s[2:3], s[0:1]
	s_cbranch_execz .LBB0_19
; %bb.18:
	ds_read_b128 v[196:199], v3 offset:2496
	ds_read_b128 v[200:203], v3 offset:5408
	;; [unrolled: 1-line block ×3, first 2 shown]
.LBB0_19:
	s_or_b64 exec, exec, s[2:3]
	v_accvgpr_read_b32 v8, a68
	v_accvgpr_read_b32 v10, a70
	;; [unrolled: 1-line block ×4, first 2 shown]
	s_waitcnt lgkmcnt(9)
	v_mul_f64 v[0:1], v[10:11], v[194:195]
	v_mul_f64 v[6:7], v[10:11], v[192:193]
	v_fmac_f64_e32 v[0:1], v[8:9], v[192:193]
	v_fma_f64 v[12:13], v[8:9], v[194:195], -v[6:7]
	v_accvgpr_read_b32 v8, a64
	v_accvgpr_read_b32 v10, a66
	;; [unrolled: 1-line block ×4, first 2 shown]
	s_waitcnt lgkmcnt(7)
	v_mul_f64 v[6:7], v[10:11], v[188:189]
	v_fma_f64 v[16:17], v[8:9], v[190:191], -v[6:7]
	v_mul_f64 v[6:7], v[74:75], v[168:169]
	v_fma_f64 v[22:23], v[72:73], v[170:171], -v[6:7]
	s_waitcnt lgkmcnt(6)
	v_mul_f64 v[6:7], v[70:71], v[156:157]
	v_fma_f64 v[28:29], v[68:69], v[158:159], -v[6:7]
	s_waitcnt lgkmcnt(3)
	v_mul_f64 v[6:7], v[82:83], v[160:161]
	v_mul_f64 v[14:15], v[10:11], v[190:191]
	v_fma_f64 v[32:33], v[80:81], v[162:163], -v[6:7]
	s_waitcnt lgkmcnt(1)
	v_mul_f64 v[6:7], v[78:79], v[148:149]
	v_fmac_f64_e32 v[14:15], v[8:9], v[188:189]
	v_fma_f64 v[36:37], v[76:77], v[150:151], -v[6:7]
	v_mul_f64 v[6:7], v[90:91], v[144:145]
	v_fma_f64 v[40:41], v[88:89], v[146:147], -v[6:7]
	s_waitcnt lgkmcnt(0)
	v_mul_f64 v[6:7], v[86:87], v[136:137]
	v_add_f64 v[8:9], v[0:1], v[14:15]
	s_mov_b32 s2, 0xe8584caa
	v_fma_f64 v[44:45], v[84:85], v[138:139], -v[6:7]
	v_add_f64 v[6:7], v[132:133], v[0:1]
	v_fmac_f64_e32 v[132:133], -0.5, v[8:9]
	v_add_f64 v[8:9], v[12:13], -v[16:17]
	s_mov_b32 s3, 0xbfebb67a
	s_mov_b32 s5, 0x3febb67a
	;; [unrolled: 1-line block ×3, first 2 shown]
	v_mul_f64 v[20:21], v[74:75], v[170:171]
	v_fma_f64 v[10:11], s[2:3], v[8:9], v[132:133]
	v_fmac_f64_e32 v[132:133], s[4:5], v[8:9]
	v_add_f64 v[8:9], v[134:135], v[12:13]
	v_add_f64 v[12:13], v[12:13], v[16:17]
	v_fmac_f64_e32 v[20:21], v[72:73], v[168:169]
	v_mul_f64 v[24:25], v[70:71], v[158:159]
	v_fmac_f64_e32 v[134:135], -0.5, v[12:13]
	v_add_f64 v[0:1], v[0:1], -v[14:15]
	v_fmac_f64_e32 v[24:25], v[68:69], v[156:157]
	v_fma_f64 v[12:13], s[4:5], v[0:1], v[134:135]
	v_fmac_f64_e32 v[134:135], s[2:3], v[0:1]
	v_add_f64 v[0:1], v[128:129], v[20:21]
	v_add_f64 v[6:7], v[6:7], v[14:15]
	;; [unrolled: 1-line block ×4, first 2 shown]
	v_fmac_f64_e32 v[128:129], -0.5, v[0:1]
	v_add_f64 v[0:1], v[22:23], -v[28:29]
	v_fma_f64 v[18:19], s[2:3], v[0:1], v[128:129]
	v_fmac_f64_e32 v[128:129], s[4:5], v[0:1]
	v_add_f64 v[0:1], v[130:131], v[22:23]
	v_mul_f64 v[30:31], v[82:83], v[162:163]
	v_add_f64 v[8:9], v[8:9], v[16:17]
	v_add_f64 v[16:17], v[0:1], v[28:29]
	;; [unrolled: 1-line block ×3, first 2 shown]
	v_fmac_f64_e32 v[30:31], v[80:81], v[160:161]
	v_mul_f64 v[34:35], v[78:79], v[150:151]
	v_fmac_f64_e32 v[130:131], -0.5, v[0:1]
	v_add_f64 v[0:1], v[20:21], -v[24:25]
	v_fmac_f64_e32 v[34:35], v[76:77], v[148:149]
	v_fma_f64 v[20:21], s[4:5], v[0:1], v[130:131]
	v_fmac_f64_e32 v[130:131], s[2:3], v[0:1]
	v_add_f64 v[0:1], v[124:125], v[30:31]
	v_add_f64 v[22:23], v[0:1], v[34:35]
	;; [unrolled: 1-line block ×3, first 2 shown]
	v_fmac_f64_e32 v[124:125], -0.5, v[0:1]
	v_add_f64 v[0:1], v[32:33], -v[36:37]
	v_fma_f64 v[28:29], s[2:3], v[0:1], v[124:125]
	v_fmac_f64_e32 v[124:125], s[4:5], v[0:1]
	v_add_f64 v[0:1], v[126:127], v[32:33]
	v_mul_f64 v[38:39], v[90:91], v[146:147]
	v_add_f64 v[24:25], v[0:1], v[36:37]
	v_add_f64 v[0:1], v[32:33], v[36:37]
	v_fmac_f64_e32 v[38:39], v[88:89], v[144:145]
	v_mul_f64 v[42:43], v[86:87], v[138:139]
	v_fmac_f64_e32 v[126:127], -0.5, v[0:1]
	v_add_f64 v[0:1], v[30:31], -v[34:35]
	v_fmac_f64_e32 v[42:43], v[84:85], v[136:137]
	v_fma_f64 v[30:31], s[4:5], v[0:1], v[126:127]
	v_fmac_f64_e32 v[126:127], s[2:3], v[0:1]
	v_add_f64 v[0:1], v[120:121], v[38:39]
	v_add_f64 v[32:33], v[0:1], v[42:43]
	;; [unrolled: 1-line block ×3, first 2 shown]
	v_fmac_f64_e32 v[120:121], -0.5, v[0:1]
	v_add_f64 v[0:1], v[40:41], -v[44:45]
	v_fma_f64 v[36:37], s[2:3], v[0:1], v[120:121]
	v_fmac_f64_e32 v[120:121], s[4:5], v[0:1]
	v_add_f64 v[0:1], v[122:123], v[40:41]
	v_add_f64 v[34:35], v[0:1], v[44:45]
	;; [unrolled: 1-line block ×3, first 2 shown]
	v_add_u32_e32 v5, 0xc30, v3
	v_add_u32_e32 v4, 0xea0, v3
	v_fmac_f64_e32 v[122:123], -0.5, v[0:1]
	v_add_f64 v[0:1], v[38:39], -v[42:43]
	v_fma_f64 v[38:39], s[4:5], v[0:1], v[122:123]
	v_fmac_f64_e32 v[122:123], s[2:3], v[0:1]
	s_barrier
	ds_write_b128 v53, v[6:9]
	ds_write_b128 v53, v[10:13] offset:208
	ds_write_b128 v53, v[132:135] offset:416
	ds_write_b128 v54, v[14:17]
	ds_write_b128 v54, v[18:21] offset:208
	ds_write_b128 v54, v[128:131] offset:416
	;; [unrolled: 3-line block ×4, first 2 shown]
	s_and_saveexec_b64 s[12:13], s[0:1]
	s_cbranch_execz .LBB0_21
; %bb.20:
	v_accvgpr_read_b32 v12, a58
	v_accvgpr_read_b32 v14, a60
	;; [unrolled: 1-line block ×4, first 2 shown]
	v_mul_f64 v[0:1], v[14:15], v[200:201]
	v_mul_f64 v[6:7], v[64:65], v[116:117]
	v_fma_f64 v[0:1], v[12:13], v[202:203], -v[0:1]
	v_fma_f64 v[10:11], v[62:63], v[118:119], -v[6:7]
	v_mul_f64 v[14:15], v[14:15], v[202:203]
	v_mul_f64 v[18:19], v[64:65], v[118:119]
	v_add_f64 v[6:7], v[0:1], v[10:11]
	v_fmac_f64_e32 v[14:15], v[12:13], v[200:201]
	v_fmac_f64_e32 v[18:19], v[62:63], v[116:117]
	v_fma_f64 v[8:9], -0.5, v[6:7], v[198:199]
	v_add_f64 v[6:7], v[14:15], -v[18:19]
	v_fma_f64 v[12:13], s[2:3], v[6:7], v[8:9]
	v_fmac_f64_e32 v[8:9], s[4:5], v[6:7]
	v_add_f64 v[6:7], v[198:199], v[0:1]
	v_add_f64 v[16:17], v[6:7], v[10:11]
	;; [unrolled: 1-line block ×3, first 2 shown]
	v_fma_f64 v[6:7], -0.5, v[6:7], v[196:197]
	v_add_f64 v[0:1], v[0:1], -v[10:11]
	v_fma_f64 v[10:11], s[4:5], v[0:1], v[6:7]
	v_fmac_f64_e32 v[6:7], s[2:3], v[0:1]
	v_add_f64 v[0:1], v[196:197], v[14:15]
	v_add_f64 v[14:15], v[0:1], v[18:19]
	v_add_u32_sdwa v0, v2, v61 dst_sel:DWORD dst_unused:UNUSED_PAD src0_sel:DWORD src1_sel:BYTE_0
	v_lshl_add_u32 v0, v0, 4, v254
	ds_write_b128 v0, v[14:17]
	ds_write_b128 v0, v[6:9] offset:208
	ds_write_b128 v0, v[10:13] offset:416
.LBB0_21:
	s_or_b64 exec, exec, s[12:13]
	s_waitcnt lgkmcnt(0)
	s_barrier
	ds_read_b128 v[6:9], v3
	ds_read_b128 v[52:55], v3 offset:624
	ds_read_b128 v[10:13], v3 offset:1248
	;; [unrolled: 1-line block ×13, first 2 shown]
	s_waitcnt lgkmcnt(11)
	v_mul_f64 v[66:67], v[110:111], v[12:13]
	v_fmac_f64_e32 v[66:67], v[108:109], v[10:11]
	v_mul_f64 v[10:11], v[110:111], v[10:11]
	v_fma_f64 v[10:11], v[108:109], v[12:13], -v[10:11]
	s_waitcnt lgkmcnt(9)
	v_mul_f64 v[12:13], v[102:103], v[20:21]
	v_fmac_f64_e32 v[12:13], v[100:101], v[18:19]
	v_mul_f64 v[18:19], v[102:103], v[18:19]
	v_fma_f64 v[18:19], v[100:101], v[20:21], -v[18:19]
	s_waitcnt lgkmcnt(7)
	v_mul_f64 v[20:21], v[98:99], v[30:31]
	v_fmac_f64_e32 v[20:21], v[96:97], v[28:29]
	v_mul_f64 v[28:29], v[98:99], v[28:29]
	v_mul_f64 v[68:69], v[110:111], v[16:17]
	v_fma_f64 v[28:29], v[96:97], v[30:31], -v[28:29]
	s_waitcnt lgkmcnt(5)
	v_mul_f64 v[30:31], v[94:95], v[38:39]
	v_fmac_f64_e32 v[68:69], v[108:109], v[14:15]
	v_mul_f64 v[14:15], v[110:111], v[14:15]
	v_fmac_f64_e32 v[30:31], v[92:93], v[36:37]
	v_mul_f64 v[36:37], v[94:95], v[36:37]
	v_fma_f64 v[70:71], v[108:109], v[16:17], -v[14:15]
	v_mul_f64 v[14:15], v[102:103], v[22:23]
	v_fma_f64 v[36:37], v[92:93], v[38:39], -v[36:37]
	s_waitcnt lgkmcnt(3)
	v_mul_f64 v[38:39], v[114:115], v[46:47]
	v_fma_f64 v[74:75], v[100:101], v[24:25], -v[14:15]
	v_mul_f64 v[76:77], v[98:99], v[34:35]
	v_mul_f64 v[14:15], v[98:99], v[32:33]
	v_fmac_f64_e32 v[38:39], v[112:113], v[44:45]
	v_mul_f64 v[44:45], v[114:115], v[44:45]
	v_fmac_f64_e32 v[76:77], v[96:97], v[32:33]
	v_fma_f64 v[32:33], v[96:97], v[34:35], -v[14:15]
	v_mul_f64 v[34:35], v[94:95], v[42:43]
	v_mul_f64 v[14:15], v[94:95], v[40:41]
	v_fma_f64 v[44:45], v[112:113], v[46:47], -v[44:45]
	s_waitcnt lgkmcnt(1)
	v_mul_f64 v[46:47], v[106:107], v[58:59]
	v_fmac_f64_e32 v[34:35], v[92:93], v[40:41]
	v_fma_f64 v[40:41], v[92:93], v[42:43], -v[14:15]
	v_mul_f64 v[42:43], v[114:115], v[50:51]
	v_mul_f64 v[14:15], v[114:115], v[48:49]
	v_fmac_f64_e32 v[46:47], v[104:105], v[56:57]
	v_mul_f64 v[56:57], v[106:107], v[56:57]
	v_fmac_f64_e32 v[42:43], v[112:113], v[48:49]
	v_fma_f64 v[48:49], v[112:113], v[50:51], -v[14:15]
	s_waitcnt lgkmcnt(0)
	v_mul_f64 v[50:51], v[106:107], v[64:65]
	v_mul_f64 v[14:15], v[106:107], v[62:63]
	v_fma_f64 v[56:57], v[104:105], v[58:59], -v[56:57]
	v_mul_f64 v[72:73], v[102:103], v[24:25]
	v_fmac_f64_e32 v[50:51], v[104:105], v[62:63]
	v_fma_f64 v[62:63], v[104:105], v[64:65], -v[14:15]
	v_add_f64 v[14:15], v[66:67], v[46:47]
	v_add_f64 v[24:25], v[12:13], v[38:39]
	v_fmac_f64_e32 v[72:73], v[100:101], v[22:23]
	v_add_f64 v[16:17], v[10:11], v[56:57]
	v_add_f64 v[22:23], v[66:67], -v[46:47]
	v_add_f64 v[46:47], v[18:19], v[44:45]
	v_add_f64 v[12:13], v[12:13], -v[38:39]
	;; [unrolled: 2-line block ×3, first 2 shown]
	v_add_f64 v[30:31], v[24:25], v[14:15]
	v_accvgpr_read_b32 v2, a62
	v_add_f64 v[10:11], v[10:11], -v[56:57]
	v_add_f64 v[18:19], v[18:19], -v[44:45]
	v_add_f64 v[44:45], v[28:29], v[36:37]
	v_add_f64 v[28:29], v[36:37], -v[28:29]
	v_add_f64 v[36:37], v[46:47], v[16:17]
	v_add_f64 v[56:57], v[20:21], v[12:13]
	;; [unrolled: 1-line block ×3, first 2 shown]
	v_mad_u64_u32 v[0:1], s[0:1], s10, v2, 0
	v_add_f64 v[58:59], v[28:29], v[18:19]
	v_add_f64 v[78:79], v[20:21], -v[12:13]
	v_add_f64 v[20:21], v[22:23], -v[20:21]
	;; [unrolled: 1-line block ×3, first 2 shown]
	v_add_f64 v[36:37], v[44:45], v[36:37]
	v_add_f64 v[22:23], v[56:57], v[22:23]
	;; [unrolled: 1-line block ×3, first 2 shown]
	s_mov_b32 s2, 0x37e14327
	s_mov_b32 s12, 0xe976ee23
	;; [unrolled: 1-line block ×4, first 2 shown]
	v_add_f64 v[64:65], v[24:25], -v[14:15]
	v_add_f64 v[14:15], v[14:15], -v[38:39]
	;; [unrolled: 1-line block ×5, first 2 shown]
	v_add_f64 v[10:11], v[58:59], v[10:11]
	v_add_f64 v[58:59], v[8:9], v[36:37]
	s_mov_b32 s3, 0x3fe948f6
	s_mov_b32 s0, 0x36b3c0b5
	;; [unrolled: 1-line block ×5, first 2 shown]
	v_pk_mov_b32 v[82:83], v[56:57], v[56:57] op_sel:[0,1]
	s_mov_b32 s16, 0x5476071b
	s_mov_b32 s20, 0xb247c609
	v_add_f64 v[66:67], v[46:47], -v[16:17]
	v_add_f64 v[16:17], v[16:17], -v[44:45]
	;; [unrolled: 1-line block ×4, first 2 shown]
	v_mul_f64 v[6:7], v[14:15], s[2:3]
	s_mov_b32 s1, 0x3fac98ee
	v_mul_f64 v[44:45], v[80:81], s[12:13]
	v_mul_f64 v[80:81], v[18:19], s[4:5]
	v_fmac_f64_e32 v[82:83], s[14:15], v[30:31]
	v_pk_mov_b32 v[30:31], v[58:59], v[58:59] op_sel:[0,1]
	s_mov_b32 s17, 0x3fe77f67
	s_mov_b32 s19, 0xbfe77f67
	;; [unrolled: 1-line block ×7, first 2 shown]
	v_mul_f64 v[8:9], v[16:17], s[2:3]
	v_mul_f64 v[14:15], v[24:25], s[0:1]
	;; [unrolled: 1-line block ×5, first 2 shown]
	v_fmac_f64_e32 v[30:31], s[14:15], v[36:37]
	v_fma_f64 v[36:37], v[64:65], s[18:19], -v[6:7]
	v_fmac_f64_e32 v[6:7], s[0:1], v[24:25]
	v_fma_f64 v[18:19], v[18:19], s[4:5], -v[44:45]
	;; [unrolled: 2-line block ×3, first 2 shown]
	s_mov_b32 s23, 0xbfdc38aa
	v_fma_f64 v[14:15], v[64:65], s[16:17], -v[14:15]
	v_fma_f64 v[16:17], v[66:67], s[16:17], -v[16:17]
	;; [unrolled: 1-line block ×3, first 2 shown]
	v_fmac_f64_e32 v[8:9], s[0:1], v[46:47]
	v_fma_f64 v[46:47], v[12:13], s[4:5], -v[38:39]
	v_fmac_f64_e32 v[38:39], s[20:21], v[20:21]
	v_fma_f64 v[64:65], v[20:21], s[24:25], -v[78:79]
	v_add_f64 v[66:67], v[6:7], v[82:83]
	v_add_f64 v[36:37], v[36:37], v[82:83]
	v_fmac_f64_e32 v[44:45], s[22:23], v[10:11]
	v_fmac_f64_e32 v[28:29], s[22:23], v[10:11]
	v_add_f64 v[78:79], v[8:9], v[30:31]
	v_add_f64 v[20:21], v[14:15], v[82:83]
	;; [unrolled: 1-line block ×4, first 2 shown]
	v_fmac_f64_e32 v[38:39], s[22:23], v[22:23]
	v_fmac_f64_e32 v[46:47], s[22:23], v[22:23]
	;; [unrolled: 1-line block ×4, first 2 shown]
	v_add_f64 v[6:7], v[44:45], v[66:67]
	v_add_f64 v[10:11], v[28:29], v[36:37]
	v_add_f64 v[22:23], v[36:37], -v[28:29]
	v_add_f64 v[28:29], v[66:67], -v[44:45]
	v_add_f64 v[36:37], v[68:69], v[50:51]
	v_add_f64 v[44:45], v[68:69], -v[50:51]
	v_add_f64 v[50:51], v[72:73], v[42:43]
	v_add_f64 v[8:9], v[78:79], -v[38:39]
	v_add_f64 v[12:13], v[24:25], -v[64:65]
	;; [unrolled: 1-line block ×3, first 2 shown]
	v_add_f64 v[16:17], v[46:47], v[80:81]
	v_add_f64 v[18:19], v[18:19], v[20:21]
	v_add_f64 v[20:21], v[80:81], -v[46:47]
	v_add_f64 v[24:25], v[64:65], v[24:25]
	v_add_f64 v[30:31], v[38:39], v[78:79]
	v_add_f64 v[38:39], v[70:71], v[62:63]
	v_add_f64 v[46:47], v[70:71], -v[62:63]
	v_add_f64 v[62:63], v[74:75], v[48:49]
	;; [unrolled: 4-line block ×3, first 2 shown]
	v_add_f64 v[42:43], v[72:73], -v[42:43]
	v_add_f64 v[48:49], v[74:75], -v[48:49]
	;; [unrolled: 1-line block ×3, first 2 shown]
	v_add_f64 v[68:69], v[62:63], v[38:39]
	v_add_f64 v[40:41], v[64:65], v[40:41]
	v_add_f64 v[70:71], v[50:51], -v[36:37]
	v_add_f64 v[36:37], v[36:37], -v[64:65]
	;; [unrolled: 1-line block ×3, first 2 shown]
	v_add_f64 v[76:77], v[32:33], v[48:49]
	v_add_f64 v[78:79], v[34:35], -v[42:43]
	v_add_f64 v[80:81], v[32:33], -v[48:49]
	;; [unrolled: 1-line block ×3, first 2 shown]
	v_add_f64 v[64:65], v[66:67], v[68:69]
	v_add_f64 v[32:33], v[52:53], v[40:41]
	v_add_f64 v[72:73], v[62:63], -v[38:39]
	v_add_f64 v[38:39], v[38:39], -v[66:67]
	;; [unrolled: 1-line block ×3, first 2 shown]
	v_add_f64 v[74:75], v[34:35], v[42:43]
	v_add_f64 v[82:83], v[44:45], -v[34:35]
	v_add_f64 v[42:43], v[42:43], -v[44:45]
	;; [unrolled: 1-line block ×3, first 2 shown]
	v_add_f64 v[34:35], v[54:55], v[64:65]
	v_mul_f64 v[66:67], v[78:79], s[12:13]
	v_pk_mov_b32 v[78:79], v[32:33], v[32:33] op_sel:[0,1]
	v_add_f64 v[44:45], v[74:75], v[44:45]
	v_add_f64 v[46:47], v[76:77], v[46:47]
	v_mul_f64 v[36:37], v[36:37], s[2:3]
	v_mul_f64 v[38:39], v[38:39], s[2:3]
	;; [unrolled: 1-line block ×7, first 2 shown]
	v_fmac_f64_e32 v[78:79], s[14:15], v[40:41]
	v_pk_mov_b32 v[40:41], v[34:35], v[34:35] op_sel:[0,1]
	v_fmac_f64_e32 v[40:41], s[14:15], v[64:65]
	v_fma_f64 v[50:51], s[0:1], v[50:51], v[36:37]
	v_fma_f64 v[52:53], v[70:71], s[16:17], -v[52:53]
	v_fma_f64 v[54:55], v[72:73], s[16:17], -v[54:55]
	;; [unrolled: 1-line block ×4, first 2 shown]
	v_fmac_f64_e32 v[38:39], s[0:1], v[62:63]
	v_fma_f64 v[70:71], s[20:21], v[82:83], v[66:67]
	v_fma_f64 v[62:63], v[42:43], s[4:5], -v[66:67]
	v_fma_f64 v[48:49], v[48:49], s[4:5], -v[68:69]
	v_fmac_f64_e32 v[68:69], s[20:21], v[84:85]
	v_fma_f64 v[66:67], v[82:83], s[24:25], -v[74:75]
	v_fma_f64 v[72:73], v[84:85], s[24:25], -v[76:77]
	v_add_f64 v[74:75], v[50:51], v[78:79]
	v_add_f64 v[76:77], v[38:39], v[40:41]
	;; [unrolled: 1-line block ×6, first 2 shown]
	v_fmac_f64_e32 v[70:71], s[22:23], v[44:45]
	v_fmac_f64_e32 v[68:69], s[22:23], v[46:47]
	v_fmac_f64_e32 v[62:63], s[22:23], v[44:45]
	v_fmac_f64_e32 v[48:49], s[22:23], v[46:47]
	v_fmac_f64_e32 v[66:67], s[22:23], v[44:45]
	v_fmac_f64_e32 v[72:73], s[22:23], v[46:47]
	v_add_f64 v[36:37], v[68:69], v[74:75]
	v_add_f64 v[38:39], v[76:77], -v[70:71]
	v_add_f64 v[40:41], v[72:73], v[54:55]
	v_add_f64 v[42:43], v[64:65], -v[66:67]
	v_add_f64 v[44:45], v[50:51], -v[48:49]
	v_add_f64 v[46:47], v[62:63], v[52:53]
	v_add_f64 v[48:49], v[48:49], v[50:51]
	v_add_f64 v[50:51], v[52:53], -v[62:63]
	v_add_f64 v[52:53], v[54:55], -v[72:73]
	v_add_f64 v[54:55], v[66:67], v[64:65]
	v_add_f64 v[62:63], v[74:75], -v[68:69]
	v_add_f64 v[64:65], v[70:71], v[76:77]
	s_barrier
	ds_write_b128 v3, v[56:59]
	ds_write_b128 v3, v[6:9] offset:624
	ds_write_b128 v3, v[10:13] offset:1248
	;; [unrolled: 1-line block ×13, first 2 shown]
	s_waitcnt lgkmcnt(0)
	s_barrier
	ds_read_b128 v[6:9], v3 offset:4368
	ds_read_b128 v[10:13], v3
	ds_read_b128 v[14:17], v3 offset:624
	ds_read_b128 v[18:21], v3 offset:4992
	;; [unrolled: 1-line block ×12, first 2 shown]
	s_waitcnt lgkmcnt(13)
	v_mul_f64 v[66:67], v[142:143], v[8:9]
	v_fmac_f64_e32 v[66:67], v[140:141], v[6:7]
	v_mul_f64 v[6:7], v[142:143], v[6:7]
	v_fma_f64 v[8:9], v[140:141], v[8:9], -v[6:7]
	s_waitcnt lgkmcnt(10)
	v_mul_f64 v[6:7], v[154:155], v[18:19]
	v_mul_f64 v[68:69], v[154:155], v[20:21]
	v_fma_f64 v[20:21], v[152:153], v[20:21], -v[6:7]
	s_waitcnt lgkmcnt(9)
	v_mul_f64 v[6:7], v[166:167], v[22:23]
	;; [unrolled: 4-line block ×6, first 2 shown]
	v_mul_f64 v[6:7], v[186:187], v[62:63]
	v_fmac_f64_e32 v[68:69], v[152:153], v[18:19]
	v_fmac_f64_e32 v[70:71], v[164:165], v[22:23]
	;; [unrolled: 1-line block ×6, first 2 shown]
	v_fma_f64 v[64:65], v[184:185], v[64:65], -v[6:7]
	v_add_f64 v[6:7], v[10:11], -v[66:67]
	v_add_f64 v[8:9], v[12:13], -v[8:9]
	v_fma_f64 v[10:11], v[10:11], 2.0, -v[6:7]
	v_fma_f64 v[12:13], v[12:13], 2.0, -v[8:9]
	v_add_f64 v[18:19], v[14:15], -v[68:69]
	v_add_f64 v[20:21], v[16:17], -v[20:21]
	;; [unrolled: 1-line block ×12, first 2 shown]
	v_fma_f64 v[14:15], v[14:15], 2.0, -v[18:19]
	v_fma_f64 v[16:17], v[16:17], 2.0, -v[20:21]
	;; [unrolled: 1-line block ×12, first 2 shown]
	ds_write_b128 v3, v[10:13]
	ds_write_b128 v26, v[6:9] offset:4368
	ds_write_b128 v26, v[14:17] offset:624
	;; [unrolled: 1-line block ×13, first 2 shown]
	s_waitcnt lgkmcnt(0)
	s_barrier
	ds_read_b128 v[4:7], v3
	v_mov_b32_e32 v60, v1
	v_accvgpr_read_b32 v14, a46
	v_mad_u64_u32 v[8:9], s[0:1], s11, v2, v[60:61]
	v_accvgpr_read_b32 v16, a48
	v_accvgpr_read_b32 v17, a49
	v_mov_b32_e32 v1, v8
	ds_read_b128 v[8:11], v3 offset:672
	v_accvgpr_read_b32 v15, a47
	s_waitcnt lgkmcnt(1)
	v_mul_f64 v[12:13], v[16:17], v[6:7]
	v_fmac_f64_e32 v[12:13], v[14:15], v[4:5]
	s_mov_b32 s2, 0x1e01e01e
	v_mul_f64 v[4:5], v[16:17], v[4:5]
	s_mov_b32 s3, 0x3f5e01e0
	v_fma_f64 v[4:5], v[14:15], v[6:7], -v[4:5]
	v_accvgpr_read_b32 v6, a0
	v_mul_f64 v[14:15], v[4:5], s[2:3]
	v_mad_u64_u32 v[4:5], s[0:1], s8, v6, 0
	v_mov_b32_e32 v2, v5
	v_mad_u64_u32 v[6:7], s[0:1], s9, v6, v[2:3]
	v_lshlrev_b64 v[0:1], 4, v[0:1]
	v_mov_b32_e32 v5, v6
	v_mov_b32_e32 v2, s7
	v_add_co_u32_e64 v6, s[0:1], s6, v0
	v_addc_co_u32_e64 v2, s[0:1], v2, v1, s[0:1]
	v_lshlrev_b64 v[0:1], 4, v[4:5]
	v_add_co_u32_e64 v0, s[0:1], v6, v0
	v_mul_f64 v[12:13], v[12:13], s[2:3]
	v_addc_co_u32_e64 v1, s[0:1], v2, v1, s[0:1]
	global_store_dwordx4 v[0:1], v[12:15], off
	s_mul_i32 s0, s9, 42
	v_accvgpr_read_b32 v12, a34
	v_accvgpr_read_b32 v14, a36
	;; [unrolled: 1-line block ×4, first 2 shown]
	s_waitcnt lgkmcnt(0)
	v_mul_f64 v[4:5], v[14:15], v[10:11]
	v_mul_f64 v[6:7], v[14:15], v[8:9]
	v_fmac_f64_e32 v[4:5], v[12:13], v[8:9]
	v_fma_f64 v[6:7], v[12:13], v[10:11], -v[6:7]
	s_mul_hi_u32 s1, s8, 42
	ds_read_b128 v[8:11], v3 offset:1344
	s_add_i32 s1, s1, s0
	s_mul_i32 s0, s8, 42
	s_lshl_b64 s[4:5], s[0:1], 4
	v_mov_b32_e32 v2, s5
	v_add_co_u32_e64 v0, s[0:1], s4, v0
	v_accvgpr_read_b32 v14, a38
	v_mul_f64 v[4:5], v[4:5], s[2:3]
	v_mul_f64 v[6:7], v[6:7], s[2:3]
	v_addc_co_u32_e64 v1, s[0:1], v1, v2, s[0:1]
	v_accvgpr_read_b32 v16, a40
	v_accvgpr_read_b32 v17, a41
	global_store_dwordx4 v[0:1], v[4:7], off
	ds_read_b128 v[4:7], v3 offset:2016
	v_accvgpr_read_b32 v15, a39
	s_waitcnt lgkmcnt(1)
	v_mul_f64 v[12:13], v[16:17], v[10:11]
	v_fmac_f64_e32 v[12:13], v[14:15], v[8:9]
	v_mul_f64 v[8:9], v[16:17], v[8:9]
	v_fma_f64 v[8:9], v[14:15], v[10:11], -v[8:9]
	v_add_co_u32_e64 v0, s[0:1], s4, v0
	v_mul_f64 v[12:13], v[12:13], s[2:3]
	v_mul_f64 v[14:15], v[8:9], s[2:3]
	v_addc_co_u32_e64 v1, s[0:1], v1, v2, s[0:1]
	global_store_dwordx4 v[0:1], v[12:15], off
	v_accvgpr_read_b32 v10, a30
	v_accvgpr_read_b32 v12, a32
	;; [unrolled: 1-line block ×4, first 2 shown]
	s_waitcnt lgkmcnt(0)
	v_mul_f64 v[8:9], v[12:13], v[6:7]
	v_fmac_f64_e32 v[8:9], v[10:11], v[4:5]
	v_mul_f64 v[4:5], v[12:13], v[4:5]
	v_fma_f64 v[4:5], v[10:11], v[6:7], -v[4:5]
	v_mul_f64 v[10:11], v[4:5], s[2:3]
	ds_read_b128 v[4:7], v3 offset:2688
	v_add_co_u32_e64 v0, s[0:1], s4, v0
	v_accvgpr_read_b32 v14, a42
	v_mul_f64 v[8:9], v[8:9], s[2:3]
	v_addc_co_u32_e64 v1, s[0:1], v1, v2, s[0:1]
	v_accvgpr_read_b32 v16, a44
	v_accvgpr_read_b32 v17, a45
	global_store_dwordx4 v[0:1], v[8:11], off
	ds_read_b128 v[8:11], v3 offset:3360
	v_accvgpr_read_b32 v15, a43
	s_waitcnt lgkmcnt(1)
	v_mul_f64 v[12:13], v[16:17], v[6:7]
	v_fmac_f64_e32 v[12:13], v[14:15], v[4:5]
	v_mul_f64 v[4:5], v[16:17], v[4:5]
	v_fma_f64 v[4:5], v[14:15], v[6:7], -v[4:5]
	v_add_co_u32_e64 v0, s[0:1], s4, v0
	v_mul_f64 v[12:13], v[12:13], s[2:3]
	v_mul_f64 v[14:15], v[4:5], s[2:3]
	v_addc_co_u32_e64 v1, s[0:1], v1, v2, s[0:1]
	global_store_dwordx4 v[0:1], v[12:15], off
	v_add_co_u32_e64 v0, s[0:1], s4, v0
	v_accvgpr_read_b32 v12, a14
	v_accvgpr_read_b32 v14, a16
	;; [unrolled: 1-line block ×4, first 2 shown]
	s_waitcnt lgkmcnt(0)
	v_mul_f64 v[4:5], v[14:15], v[10:11]
	v_mul_f64 v[6:7], v[14:15], v[8:9]
	v_fmac_f64_e32 v[4:5], v[12:13], v[8:9]
	v_fma_f64 v[6:7], v[12:13], v[10:11], -v[6:7]
	ds_read_b128 v[8:11], v3 offset:4032
	v_accvgpr_read_b32 v17, a5
	v_mul_f64 v[4:5], v[4:5], s[2:3]
	v_mul_f64 v[6:7], v[6:7], s[2:3]
	v_addc_co_u32_e64 v1, s[0:1], v1, v2, s[0:1]
	v_accvgpr_read_b32 v16, a4
	global_store_dwordx4 v[0:1], v[4:7], off
	ds_read_b128 v[4:7], v3 offset:4704
	v_accvgpr_read_b32 v15, a3
	v_accvgpr_read_b32 v14, a2
	s_waitcnt lgkmcnt(1)
	v_mul_f64 v[12:13], v[16:17], v[10:11]
	v_fmac_f64_e32 v[12:13], v[14:15], v[8:9]
	v_mul_f64 v[8:9], v[16:17], v[8:9]
	v_fma_f64 v[8:9], v[14:15], v[10:11], -v[8:9]
	v_add_co_u32_e64 v0, s[0:1], s4, v0
	v_mul_f64 v[12:13], v[12:13], s[2:3]
	v_mul_f64 v[14:15], v[8:9], s[2:3]
	v_addc_co_u32_e64 v1, s[0:1], v1, v2, s[0:1]
	global_store_dwordx4 v[0:1], v[12:15], off
	v_accvgpr_read_b32 v10, a50
	v_accvgpr_read_b32 v12, a52
	;; [unrolled: 1-line block ×4, first 2 shown]
	s_waitcnt lgkmcnt(0)
	v_mul_f64 v[8:9], v[12:13], v[6:7]
	v_fmac_f64_e32 v[8:9], v[10:11], v[4:5]
	v_mul_f64 v[4:5], v[12:13], v[4:5]
	v_fma_f64 v[4:5], v[10:11], v[6:7], -v[4:5]
	v_mul_f64 v[10:11], v[4:5], s[2:3]
	ds_read_b128 v[4:7], v3 offset:5376
	v_add_co_u32_e64 v0, s[0:1], s4, v0
	v_accvgpr_read_b32 v17, a13
	v_mul_f64 v[8:9], v[8:9], s[2:3]
	v_addc_co_u32_e64 v1, s[0:1], v1, v2, s[0:1]
	v_accvgpr_read_b32 v16, a12
	global_store_dwordx4 v[0:1], v[8:11], off
	ds_read_b128 v[8:11], v3 offset:6048
	v_accvgpr_read_b32 v15, a11
	v_accvgpr_read_b32 v14, a10
	s_waitcnt lgkmcnt(1)
	v_mul_f64 v[12:13], v[16:17], v[6:7]
	v_fmac_f64_e32 v[12:13], v[14:15], v[4:5]
	v_mul_f64 v[4:5], v[16:17], v[4:5]
	v_fma_f64 v[4:5], v[14:15], v[6:7], -v[4:5]
	v_add_co_u32_e64 v0, s[0:1], s4, v0
	v_mul_f64 v[12:13], v[12:13], s[2:3]
	v_mul_f64 v[14:15], v[4:5], s[2:3]
	v_addc_co_u32_e64 v1, s[0:1], v1, v2, s[0:1]
	global_store_dwordx4 v[0:1], v[12:15], off
	v_add_co_u32_e64 v0, s[0:1], s4, v0
	v_accvgpr_read_b32 v12, a22
	v_accvgpr_read_b32 v14, a24
	;; [unrolled: 1-line block ×4, first 2 shown]
	s_waitcnt lgkmcnt(0)
	v_mul_f64 v[4:5], v[14:15], v[10:11]
	v_mul_f64 v[6:7], v[14:15], v[8:9]
	v_fmac_f64_e32 v[4:5], v[12:13], v[8:9]
	v_fma_f64 v[6:7], v[12:13], v[10:11], -v[6:7]
	ds_read_b128 v[8:11], v3 offset:6720
	v_accvgpr_read_b32 v17, a9
	v_mul_f64 v[4:5], v[4:5], s[2:3]
	v_mul_f64 v[6:7], v[6:7], s[2:3]
	v_addc_co_u32_e64 v1, s[0:1], v1, v2, s[0:1]
	v_accvgpr_read_b32 v16, a8
	global_store_dwordx4 v[0:1], v[4:7], off
	ds_read_b128 v[4:7], v3 offset:7392
	v_accvgpr_read_b32 v15, a7
	v_accvgpr_read_b32 v14, a6
	s_waitcnt lgkmcnt(1)
	v_mul_f64 v[12:13], v[16:17], v[10:11]
	v_fmac_f64_e32 v[12:13], v[14:15], v[8:9]
	v_mul_f64 v[8:9], v[16:17], v[8:9]
	v_fma_f64 v[8:9], v[14:15], v[10:11], -v[8:9]
	v_add_co_u32_e64 v0, s[0:1], s4, v0
	v_mul_f64 v[12:13], v[12:13], s[2:3]
	v_mul_f64 v[14:15], v[8:9], s[2:3]
	v_addc_co_u32_e64 v1, s[0:1], v1, v2, s[0:1]
	global_store_dwordx4 v[0:1], v[12:15], off
	v_accvgpr_read_b32 v10, a18
	v_accvgpr_read_b32 v12, a20
	;; [unrolled: 1-line block ×4, first 2 shown]
	s_waitcnt lgkmcnt(0)
	v_mul_f64 v[8:9], v[12:13], v[6:7]
	v_fmac_f64_e32 v[8:9], v[10:11], v[4:5]
	v_mul_f64 v[4:5], v[12:13], v[4:5]
	v_fma_f64 v[4:5], v[10:11], v[6:7], -v[4:5]
	v_mul_f64 v[10:11], v[4:5], s[2:3]
	ds_read_b128 v[4:7], v3 offset:8064
	v_add_co_u32_e64 v0, s[0:1], s4, v0
	v_mul_f64 v[8:9], v[8:9], s[2:3]
	v_addc_co_u32_e64 v1, s[0:1], v1, v2, s[0:1]
	global_store_dwordx4 v[0:1], v[8:11], off
	v_add_co_u32_e64 v0, s[0:1], s4, v0
	v_accvgpr_read_b32 v10, a26
	v_accvgpr_read_b32 v12, a28
	;; [unrolled: 1-line block ×4, first 2 shown]
	s_waitcnt lgkmcnt(0)
	v_mul_f64 v[8:9], v[12:13], v[6:7]
	v_fmac_f64_e32 v[8:9], v[10:11], v[4:5]
	v_mul_f64 v[4:5], v[12:13], v[4:5]
	v_fma_f64 v[4:5], v[10:11], v[6:7], -v[4:5]
	v_mul_f64 v[8:9], v[8:9], s[2:3]
	v_mul_f64 v[10:11], v[4:5], s[2:3]
	v_addc_co_u32_e64 v1, s[0:1], v1, v2, s[0:1]
	global_store_dwordx4 v[0:1], v[8:11], off
	s_and_b64 exec, exec, vcc
	s_cbranch_execz .LBB0_23
; %bb.22:
	global_load_dwordx4 v[4:7], v[252:253], off offset:624
	ds_read_b128 v[8:11], v26 offset:624
	v_mov_b32_e32 v2, 0xffffe2f0
	s_mul_i32 s6, s9, 0xffffe2f0
	v_mad_u64_u32 v[0:1], s[0:1], s8, v2, v[0:1]
	s_sub_i32 s0, s6, s8
	v_add_u32_e32 v1, s0, v1
	v_mov_b32_e32 v20, s5
	s_movk_i32 s0, 0x1000
	s_waitcnt vmcnt(0) lgkmcnt(0)
	v_mul_f64 v[12:13], v[10:11], v[6:7]
	v_mul_f64 v[6:7], v[8:9], v[6:7]
	v_fmac_f64_e32 v[12:13], v[8:9], v[4:5]
	v_fma_f64 v[6:7], v[4:5], v[10:11], -v[6:7]
	v_mul_f64 v[4:5], v[12:13], s[2:3]
	v_mul_f64 v[6:7], v[6:7], s[2:3]
	global_store_dwordx4 v[0:1], v[4:7], off
	global_load_dwordx4 v[4:7], v[252:253], off offset:1296
	ds_read_b128 v[8:11], v3 offset:1296
	ds_read_b128 v[12:15], v3 offset:1968
	v_add_co_u32_e32 v0, vcc, s4, v0
	v_addc_co_u32_e32 v1, vcc, v1, v20, vcc
	s_waitcnt vmcnt(0) lgkmcnt(1)
	v_mul_f64 v[16:17], v[10:11], v[6:7]
	v_mul_f64 v[6:7], v[8:9], v[6:7]
	v_fmac_f64_e32 v[16:17], v[8:9], v[4:5]
	v_fma_f64 v[6:7], v[4:5], v[10:11], -v[6:7]
	v_mul_f64 v[4:5], v[16:17], s[2:3]
	v_mul_f64 v[6:7], v[6:7], s[2:3]
	global_store_dwordx4 v[0:1], v[4:7], off
	global_load_dwordx4 v[4:7], v[252:253], off offset:1968
	v_add_co_u32_e32 v0, vcc, s4, v0
	v_addc_co_u32_e32 v1, vcc, v1, v20, vcc
	s_waitcnt vmcnt(0) lgkmcnt(0)
	v_mul_f64 v[8:9], v[14:15], v[6:7]
	v_mul_f64 v[6:7], v[12:13], v[6:7]
	v_fmac_f64_e32 v[8:9], v[12:13], v[4:5]
	v_fma_f64 v[6:7], v[4:5], v[14:15], -v[6:7]
	v_mul_f64 v[4:5], v[8:9], s[2:3]
	v_mul_f64 v[6:7], v[6:7], s[2:3]
	global_store_dwordx4 v[0:1], v[4:7], off
	global_load_dwordx4 v[4:7], v[252:253], off offset:2640
	ds_read_b128 v[8:11], v3 offset:2640
	ds_read_b128 v[12:15], v3 offset:3312
	v_add_co_u32_e32 v0, vcc, s4, v0
	v_addc_co_u32_e32 v1, vcc, v1, v20, vcc
	s_waitcnt vmcnt(0) lgkmcnt(1)
	v_mul_f64 v[16:17], v[10:11], v[6:7]
	v_mul_f64 v[6:7], v[8:9], v[6:7]
	v_fmac_f64_e32 v[16:17], v[8:9], v[4:5]
	v_fma_f64 v[6:7], v[4:5], v[10:11], -v[6:7]
	v_mul_f64 v[4:5], v[16:17], s[2:3]
	v_mul_f64 v[6:7], v[6:7], s[2:3]
	global_store_dwordx4 v[0:1], v[4:7], off
	global_load_dwordx4 v[4:7], v[252:253], off offset:3312
	v_add_co_u32_e32 v0, vcc, s4, v0
	v_addc_co_u32_e32 v1, vcc, v1, v20, vcc
	v_add_co_u32_e32 v16, vcc, s0, v252
	v_addc_co_u32_e32 v17, vcc, 0, v253, vcc
	s_movk_i32 s0, 0x2000
	s_waitcnt vmcnt(0) lgkmcnt(0)
	v_mul_f64 v[8:9], v[14:15], v[6:7]
	v_mul_f64 v[6:7], v[12:13], v[6:7]
	v_fmac_f64_e32 v[8:9], v[12:13], v[4:5]
	v_fma_f64 v[6:7], v[4:5], v[14:15], -v[6:7]
	v_mul_f64 v[4:5], v[8:9], s[2:3]
	v_mul_f64 v[6:7], v[6:7], s[2:3]
	global_store_dwordx4 v[0:1], v[4:7], off
	global_load_dwordx4 v[4:7], v[252:253], off offset:3984
	ds_read_b128 v[8:11], v3 offset:3984
	ds_read_b128 v[12:15], v3 offset:4656
	v_add_co_u32_e32 v0, vcc, s4, v0
	v_addc_co_u32_e32 v1, vcc, v1, v20, vcc
	s_waitcnt vmcnt(0) lgkmcnt(1)
	v_mul_f64 v[18:19], v[10:11], v[6:7]
	v_mul_f64 v[6:7], v[8:9], v[6:7]
	v_fmac_f64_e32 v[18:19], v[8:9], v[4:5]
	v_fma_f64 v[6:7], v[4:5], v[10:11], -v[6:7]
	v_mul_f64 v[4:5], v[18:19], s[2:3]
	v_mul_f64 v[6:7], v[6:7], s[2:3]
	global_store_dwordx4 v[0:1], v[4:7], off
	global_load_dwordx4 v[4:7], v[16:17], off offset:560
	v_add_co_u32_e32 v0, vcc, s4, v0
	v_addc_co_u32_e32 v1, vcc, v1, v20, vcc
	s_waitcnt vmcnt(0) lgkmcnt(0)
	v_mul_f64 v[8:9], v[14:15], v[6:7]
	v_mul_f64 v[6:7], v[12:13], v[6:7]
	v_fmac_f64_e32 v[8:9], v[12:13], v[4:5]
	v_fma_f64 v[6:7], v[4:5], v[14:15], -v[6:7]
	v_mul_f64 v[4:5], v[8:9], s[2:3]
	v_mul_f64 v[6:7], v[6:7], s[2:3]
	global_store_dwordx4 v[0:1], v[4:7], off
	global_load_dwordx4 v[4:7], v[16:17], off offset:1232
	ds_read_b128 v[8:11], v3 offset:5328
	ds_read_b128 v[12:15], v3 offset:6000
	v_add_co_u32_e32 v0, vcc, s4, v0
	v_addc_co_u32_e32 v1, vcc, v1, v20, vcc
	s_waitcnt vmcnt(0) lgkmcnt(1)
	v_mul_f64 v[18:19], v[10:11], v[6:7]
	v_mul_f64 v[6:7], v[8:9], v[6:7]
	v_fmac_f64_e32 v[18:19], v[8:9], v[4:5]
	v_fma_f64 v[6:7], v[4:5], v[10:11], -v[6:7]
	v_mul_f64 v[4:5], v[18:19], s[2:3]
	v_mul_f64 v[6:7], v[6:7], s[2:3]
	global_store_dwordx4 v[0:1], v[4:7], off
	global_load_dwordx4 v[4:7], v[16:17], off offset:1904
	v_add_co_u32_e32 v0, vcc, s4, v0
	v_addc_co_u32_e32 v1, vcc, v1, v20, vcc
	;; [unrolled: 24-line block ×3, first 2 shown]
	s_waitcnt vmcnt(0) lgkmcnt(0)
	v_mul_f64 v[0:1], v[14:15], v[6:7]
	v_mul_f64 v[6:7], v[12:13], v[6:7]
	v_fmac_f64_e32 v[0:1], v[12:13], v[4:5]
	v_fma_f64 v[6:7], v[4:5], v[14:15], -v[6:7]
	v_mul_f64 v[4:5], v[0:1], s[2:3]
	v_mul_f64 v[6:7], v[6:7], s[2:3]
	global_store_dwordx4 v[18:19], v[4:7], off
	global_load_dwordx4 v[4:7], v[16:17], off offset:3920
	ds_read_b128 v[8:11], v3 offset:8016
	ds_read_b128 v[0:3], v3 offset:8688
	v_add_co_u32_e32 v12, vcc, s0, v252
	v_addc_co_u32_e32 v13, vcc, 0, v253, vcc
	v_add_co_u32_e32 v14, vcc, s4, v18
	v_addc_co_u32_e32 v15, vcc, v19, v20, vcc
	s_waitcnt vmcnt(0) lgkmcnt(1)
	v_mul_f64 v[16:17], v[10:11], v[6:7]
	v_mul_f64 v[6:7], v[8:9], v[6:7]
	v_fmac_f64_e32 v[16:17], v[8:9], v[4:5]
	v_fma_f64 v[6:7], v[4:5], v[10:11], -v[6:7]
	v_mul_f64 v[4:5], v[16:17], s[2:3]
	v_mul_f64 v[6:7], v[6:7], s[2:3]
	global_store_dwordx4 v[14:15], v[4:7], off
	global_load_dwordx4 v[4:7], v[12:13], off offset:496
	s_waitcnt vmcnt(0) lgkmcnt(0)
	v_mul_f64 v[8:9], v[2:3], v[6:7]
	v_mul_f64 v[6:7], v[0:1], v[6:7]
	v_fmac_f64_e32 v[8:9], v[0:1], v[4:5]
	v_fma_f64 v[2:3], v[4:5], v[2:3], -v[6:7]
	v_add_co_u32_e32 v4, vcc, s4, v14
	v_mul_f64 v[0:1], v[8:9], s[2:3]
	v_mul_f64 v[2:3], v[2:3], s[2:3]
	v_addc_co_u32_e32 v5, vcc, v15, v20, vcc
	global_store_dwordx4 v[4:5], v[0:3], off
.LBB0_23:
	s_endpgm
	.section	.rodata,"a",@progbits
	.p2align	6, 0x0
	.amdhsa_kernel bluestein_single_fwd_len546_dim1_dp_op_CI_CI
		.amdhsa_group_segment_fixed_size 26208
		.amdhsa_private_segment_fixed_size 0
		.amdhsa_kernarg_size 104
		.amdhsa_user_sgpr_count 6
		.amdhsa_user_sgpr_private_segment_buffer 1
		.amdhsa_user_sgpr_dispatch_ptr 0
		.amdhsa_user_sgpr_queue_ptr 0
		.amdhsa_user_sgpr_kernarg_segment_ptr 1
		.amdhsa_user_sgpr_dispatch_id 0
		.amdhsa_user_sgpr_flat_scratch_init 0
		.amdhsa_user_sgpr_kernarg_preload_length 0
		.amdhsa_user_sgpr_kernarg_preload_offset 0
		.amdhsa_user_sgpr_private_segment_size 0
		.amdhsa_uses_dynamic_stack 0
		.amdhsa_system_sgpr_private_segment_wavefront_offset 0
		.amdhsa_system_sgpr_workgroup_id_x 1
		.amdhsa_system_sgpr_workgroup_id_y 0
		.amdhsa_system_sgpr_workgroup_id_z 0
		.amdhsa_system_sgpr_workgroup_info 0
		.amdhsa_system_vgpr_workitem_id 0
		.amdhsa_next_free_vgpr 332
		.amdhsa_next_free_sgpr 50
		.amdhsa_accum_offset 256
		.amdhsa_reserve_vcc 1
		.amdhsa_reserve_flat_scratch 0
		.amdhsa_float_round_mode_32 0
		.amdhsa_float_round_mode_16_64 0
		.amdhsa_float_denorm_mode_32 3
		.amdhsa_float_denorm_mode_16_64 3
		.amdhsa_dx10_clamp 1
		.amdhsa_ieee_mode 1
		.amdhsa_fp16_overflow 0
		.amdhsa_tg_split 0
		.amdhsa_exception_fp_ieee_invalid_op 0
		.amdhsa_exception_fp_denorm_src 0
		.amdhsa_exception_fp_ieee_div_zero 0
		.amdhsa_exception_fp_ieee_overflow 0
		.amdhsa_exception_fp_ieee_underflow 0
		.amdhsa_exception_fp_ieee_inexact 0
		.amdhsa_exception_int_div_zero 0
	.end_amdhsa_kernel
	.text
.Lfunc_end0:
	.size	bluestein_single_fwd_len546_dim1_dp_op_CI_CI, .Lfunc_end0-bluestein_single_fwd_len546_dim1_dp_op_CI_CI
                                        ; -- End function
	.section	.AMDGPU.csdata,"",@progbits
; Kernel info:
; codeLenInByte = 29528
; NumSgprs: 54
; NumVgprs: 256
; NumAgprs: 76
; TotalNumVgprs: 332
; ScratchSize: 0
; MemoryBound: 0
; FloatMode: 240
; IeeeMode: 1
; LDSByteSize: 26208 bytes/workgroup (compile time only)
; SGPRBlocks: 6
; VGPRBlocks: 41
; NumSGPRsForWavesPerEU: 54
; NumVGPRsForWavesPerEU: 332
; AccumOffset: 256
; Occupancy: 1
; WaveLimiterHint : 1
; COMPUTE_PGM_RSRC2:SCRATCH_EN: 0
; COMPUTE_PGM_RSRC2:USER_SGPR: 6
; COMPUTE_PGM_RSRC2:TRAP_HANDLER: 0
; COMPUTE_PGM_RSRC2:TGID_X_EN: 1
; COMPUTE_PGM_RSRC2:TGID_Y_EN: 0
; COMPUTE_PGM_RSRC2:TGID_Z_EN: 0
; COMPUTE_PGM_RSRC2:TIDIG_COMP_CNT: 0
; COMPUTE_PGM_RSRC3_GFX90A:ACCUM_OFFSET: 63
; COMPUTE_PGM_RSRC3_GFX90A:TG_SPLIT: 0
	.text
	.p2alignl 6, 3212836864
	.fill 256, 4, 3212836864
	.type	__hip_cuid_1fd34a42f14d9da5,@object ; @__hip_cuid_1fd34a42f14d9da5
	.section	.bss,"aw",@nobits
	.globl	__hip_cuid_1fd34a42f14d9da5
__hip_cuid_1fd34a42f14d9da5:
	.byte	0                               ; 0x0
	.size	__hip_cuid_1fd34a42f14d9da5, 1

	.ident	"AMD clang version 19.0.0git (https://github.com/RadeonOpenCompute/llvm-project roc-6.4.0 25133 c7fe45cf4b819c5991fe208aaa96edf142730f1d)"
	.section	".note.GNU-stack","",@progbits
	.addrsig
	.addrsig_sym __hip_cuid_1fd34a42f14d9da5
	.amdgpu_metadata
---
amdhsa.kernels:
  - .agpr_count:     76
    .args:
      - .actual_access:  read_only
        .address_space:  global
        .offset:         0
        .size:           8
        .value_kind:     global_buffer
      - .actual_access:  read_only
        .address_space:  global
        .offset:         8
        .size:           8
        .value_kind:     global_buffer
      - .actual_access:  read_only
        .address_space:  global
        .offset:         16
        .size:           8
        .value_kind:     global_buffer
      - .actual_access:  read_only
        .address_space:  global
        .offset:         24
        .size:           8
        .value_kind:     global_buffer
      - .actual_access:  read_only
        .address_space:  global
        .offset:         32
        .size:           8
        .value_kind:     global_buffer
      - .offset:         40
        .size:           8
        .value_kind:     by_value
      - .address_space:  global
        .offset:         48
        .size:           8
        .value_kind:     global_buffer
      - .address_space:  global
        .offset:         56
        .size:           8
        .value_kind:     global_buffer
      - .address_space:  global
        .offset:         64
        .size:           8
        .value_kind:     global_buffer
      - .address_space:  global
        .offset:         72
        .size:           8
        .value_kind:     global_buffer
      - .offset:         80
        .size:           4
        .value_kind:     by_value
      - .address_space:  global
        .offset:         88
        .size:           8
        .value_kind:     global_buffer
      - .address_space:  global
        .offset:         96
        .size:           8
        .value_kind:     global_buffer
    .group_segment_fixed_size: 26208
    .kernarg_segment_align: 8
    .kernarg_segment_size: 104
    .language:       OpenCL C
    .language_version:
      - 2
      - 0
    .max_flat_workgroup_size: 117
    .name:           bluestein_single_fwd_len546_dim1_dp_op_CI_CI
    .private_segment_fixed_size: 0
    .sgpr_count:     54
    .sgpr_spill_count: 0
    .symbol:         bluestein_single_fwd_len546_dim1_dp_op_CI_CI.kd
    .uniform_work_group_size: 1
    .uses_dynamic_stack: false
    .vgpr_count:     332
    .vgpr_spill_count: 0
    .wavefront_size: 64
amdhsa.target:   amdgcn-amd-amdhsa--gfx90a
amdhsa.version:
  - 1
  - 2
...

	.end_amdgpu_metadata
